;; amdgpu-corpus repo=ROCm/rocFFT kind=compiled arch=gfx1030 opt=O3
	.text
	.amdgcn_target "amdgcn-amd-amdhsa--gfx1030"
	.amdhsa_code_object_version 6
	.protected	fft_rtc_fwd_len1690_factors_13_10_13_wgs_169_tpt_169_half_op_CI_CI_unitstride_sbrr_R2C_dirReg ; -- Begin function fft_rtc_fwd_len1690_factors_13_10_13_wgs_169_tpt_169_half_op_CI_CI_unitstride_sbrr_R2C_dirReg
	.globl	fft_rtc_fwd_len1690_factors_13_10_13_wgs_169_tpt_169_half_op_CI_CI_unitstride_sbrr_R2C_dirReg
	.p2align	8
	.type	fft_rtc_fwd_len1690_factors_13_10_13_wgs_169_tpt_169_half_op_CI_CI_unitstride_sbrr_R2C_dirReg,@function
fft_rtc_fwd_len1690_factors_13_10_13_wgs_169_tpt_169_half_op_CI_CI_unitstride_sbrr_R2C_dirReg: ; @fft_rtc_fwd_len1690_factors_13_10_13_wgs_169_tpt_169_half_op_CI_CI_unitstride_sbrr_R2C_dirReg
; %bb.0:
	s_clause 0x2
	s_load_dwordx4 s[12:15], s[4:5], 0x0
	s_load_dwordx4 s[8:11], s[4:5], 0x58
	;; [unrolled: 1-line block ×3, first 2 shown]
	v_mul_u32_u24_e32 v1, 0x184, v0
	v_mov_b32_e32 v3, 0
	v_mov_b32_e32 v7, 0
	;; [unrolled: 1-line block ×3, first 2 shown]
	v_add_nc_u32_sdwa v9, s6, v1 dst_sel:DWORD dst_unused:UNUSED_PAD src0_sel:DWORD src1_sel:WORD_1
	v_mov_b32_e32 v10, v3
	s_waitcnt lgkmcnt(0)
	v_cmp_lt_u64_e64 s0, s[14:15], 2
	s_and_b32 vcc_lo, exec_lo, s0
	s_cbranch_vccnz .LBB0_8
; %bb.1:
	s_load_dwordx2 s[0:1], s[4:5], 0x10
	v_mov_b32_e32 v7, 0
	v_mov_b32_e32 v8, 0
	s_add_u32 s2, s18, 8
	s_addc_u32 s3, s19, 0
	v_mov_b32_e32 v1, v7
	s_add_u32 s6, s16, 8
	v_mov_b32_e32 v2, v8
	s_addc_u32 s7, s17, 0
	s_mov_b64 s[22:23], 1
	s_waitcnt lgkmcnt(0)
	s_add_u32 s20, s0, 8
	s_addc_u32 s21, s1, 0
.LBB0_2:                                ; =>This Inner Loop Header: Depth=1
	s_load_dwordx2 s[24:25], s[20:21], 0x0
                                        ; implicit-def: $vgpr5_vgpr6
	s_mov_b32 s0, exec_lo
	s_waitcnt lgkmcnt(0)
	v_or_b32_e32 v4, s25, v10
	v_cmpx_ne_u64_e32 0, v[3:4]
	s_xor_b32 s1, exec_lo, s0
	s_cbranch_execz .LBB0_4
; %bb.3:                                ;   in Loop: Header=BB0_2 Depth=1
	v_cvt_f32_u32_e32 v4, s24
	v_cvt_f32_u32_e32 v5, s25
	s_sub_u32 s0, 0, s24
	s_subb_u32 s26, 0, s25
	v_fmac_f32_e32 v4, 0x4f800000, v5
	v_rcp_f32_e32 v4, v4
	v_mul_f32_e32 v4, 0x5f7ffffc, v4
	v_mul_f32_e32 v5, 0x2f800000, v4
	v_trunc_f32_e32 v5, v5
	v_fmac_f32_e32 v4, 0xcf800000, v5
	v_cvt_u32_f32_e32 v5, v5
	v_cvt_u32_f32_e32 v4, v4
	v_mul_lo_u32 v6, s0, v5
	v_mul_hi_u32 v11, s0, v4
	v_mul_lo_u32 v12, s26, v4
	v_add_nc_u32_e32 v6, v11, v6
	v_mul_lo_u32 v11, s0, v4
	v_add_nc_u32_e32 v6, v6, v12
	v_mul_hi_u32 v12, v4, v11
	v_mul_lo_u32 v13, v4, v6
	v_mul_hi_u32 v14, v4, v6
	v_mul_hi_u32 v15, v5, v11
	v_mul_lo_u32 v11, v5, v11
	v_mul_hi_u32 v16, v5, v6
	v_mul_lo_u32 v6, v5, v6
	v_add_co_u32 v12, vcc_lo, v12, v13
	v_add_co_ci_u32_e32 v13, vcc_lo, 0, v14, vcc_lo
	v_add_co_u32 v11, vcc_lo, v12, v11
	v_add_co_ci_u32_e32 v11, vcc_lo, v13, v15, vcc_lo
	v_add_co_ci_u32_e32 v12, vcc_lo, 0, v16, vcc_lo
	v_add_co_u32 v6, vcc_lo, v11, v6
	v_add_co_ci_u32_e32 v11, vcc_lo, 0, v12, vcc_lo
	v_add_co_u32 v4, vcc_lo, v4, v6
	v_add_co_ci_u32_e32 v5, vcc_lo, v5, v11, vcc_lo
	v_mul_hi_u32 v6, s0, v4
	v_mul_lo_u32 v12, s26, v4
	v_mul_lo_u32 v11, s0, v5
	v_add_nc_u32_e32 v6, v6, v11
	v_mul_lo_u32 v11, s0, v4
	v_add_nc_u32_e32 v6, v6, v12
	v_mul_hi_u32 v12, v4, v11
	v_mul_lo_u32 v13, v4, v6
	v_mul_hi_u32 v14, v4, v6
	v_mul_hi_u32 v15, v5, v11
	v_mul_lo_u32 v11, v5, v11
	v_mul_hi_u32 v16, v5, v6
	v_mul_lo_u32 v6, v5, v6
	v_add_co_u32 v12, vcc_lo, v12, v13
	v_add_co_ci_u32_e32 v13, vcc_lo, 0, v14, vcc_lo
	v_add_co_u32 v11, vcc_lo, v12, v11
	v_add_co_ci_u32_e32 v11, vcc_lo, v13, v15, vcc_lo
	v_add_co_ci_u32_e32 v12, vcc_lo, 0, v16, vcc_lo
	v_add_co_u32 v6, vcc_lo, v11, v6
	v_add_co_ci_u32_e32 v11, vcc_lo, 0, v12, vcc_lo
	v_add_co_u32 v6, vcc_lo, v4, v6
	v_add_co_ci_u32_e32 v13, vcc_lo, v5, v11, vcc_lo
	v_mul_hi_u32 v15, v9, v6
	v_mad_u64_u32 v[11:12], null, v10, v6, 0
	v_mad_u64_u32 v[4:5], null, v9, v13, 0
	;; [unrolled: 1-line block ×3, first 2 shown]
	v_add_co_u32 v4, vcc_lo, v15, v4
	v_add_co_ci_u32_e32 v5, vcc_lo, 0, v5, vcc_lo
	v_add_co_u32 v4, vcc_lo, v4, v11
	v_add_co_ci_u32_e32 v4, vcc_lo, v5, v12, vcc_lo
	v_add_co_ci_u32_e32 v5, vcc_lo, 0, v14, vcc_lo
	v_add_co_u32 v11, vcc_lo, v4, v13
	v_add_co_ci_u32_e32 v6, vcc_lo, 0, v5, vcc_lo
	v_mul_lo_u32 v12, s25, v11
	v_mad_u64_u32 v[4:5], null, s24, v11, 0
	v_mul_lo_u32 v13, s24, v6
	v_sub_co_u32 v4, vcc_lo, v9, v4
	v_add3_u32 v5, v5, v13, v12
	v_sub_nc_u32_e32 v12, v10, v5
	v_subrev_co_ci_u32_e64 v12, s0, s25, v12, vcc_lo
	v_add_co_u32 v13, s0, v11, 2
	v_add_co_ci_u32_e64 v14, s0, 0, v6, s0
	v_sub_co_u32 v15, s0, v4, s24
	v_sub_co_ci_u32_e32 v5, vcc_lo, v10, v5, vcc_lo
	v_subrev_co_ci_u32_e64 v12, s0, 0, v12, s0
	v_cmp_le_u32_e32 vcc_lo, s24, v15
	v_cmp_eq_u32_e64 s0, s25, v5
	v_cndmask_b32_e64 v15, 0, -1, vcc_lo
	v_cmp_le_u32_e32 vcc_lo, s25, v12
	v_cndmask_b32_e64 v16, 0, -1, vcc_lo
	v_cmp_le_u32_e32 vcc_lo, s24, v4
	;; [unrolled: 2-line block ×3, first 2 shown]
	v_cndmask_b32_e64 v17, 0, -1, vcc_lo
	v_cmp_eq_u32_e32 vcc_lo, s25, v12
	v_cndmask_b32_e64 v4, v17, v4, s0
	v_cndmask_b32_e32 v12, v16, v15, vcc_lo
	v_add_co_u32 v15, vcc_lo, v11, 1
	v_add_co_ci_u32_e32 v16, vcc_lo, 0, v6, vcc_lo
	v_cmp_ne_u32_e32 vcc_lo, 0, v12
	v_cndmask_b32_e32 v5, v16, v14, vcc_lo
	v_cndmask_b32_e32 v12, v15, v13, vcc_lo
	v_cmp_ne_u32_e32 vcc_lo, 0, v4
	v_cndmask_b32_e32 v6, v6, v5, vcc_lo
	v_cndmask_b32_e32 v5, v11, v12, vcc_lo
.LBB0_4:                                ;   in Loop: Header=BB0_2 Depth=1
	s_andn2_saveexec_b32 s0, s1
	s_cbranch_execz .LBB0_6
; %bb.5:                                ;   in Loop: Header=BB0_2 Depth=1
	v_cvt_f32_u32_e32 v4, s24
	s_sub_i32 s1, 0, s24
	v_rcp_iflag_f32_e32 v4, v4
	v_mul_f32_e32 v4, 0x4f7ffffe, v4
	v_cvt_u32_f32_e32 v4, v4
	v_mul_lo_u32 v5, s1, v4
	v_mul_hi_u32 v5, v4, v5
	v_add_nc_u32_e32 v4, v4, v5
	v_mul_hi_u32 v4, v9, v4
	v_mul_lo_u32 v5, v4, s24
	v_add_nc_u32_e32 v6, 1, v4
	v_sub_nc_u32_e32 v5, v9, v5
	v_subrev_nc_u32_e32 v11, s24, v5
	v_cmp_le_u32_e32 vcc_lo, s24, v5
	v_cndmask_b32_e32 v5, v5, v11, vcc_lo
	v_cndmask_b32_e32 v4, v4, v6, vcc_lo
	v_cmp_le_u32_e32 vcc_lo, s24, v5
	v_add_nc_u32_e32 v6, 1, v4
	v_cndmask_b32_e32 v5, v4, v6, vcc_lo
	v_mov_b32_e32 v6, v3
.LBB0_6:                                ;   in Loop: Header=BB0_2 Depth=1
	s_or_b32 exec_lo, exec_lo, s0
	v_mul_lo_u32 v4, v6, s24
	v_mul_lo_u32 v13, v5, s25
	s_load_dwordx2 s[0:1], s[6:7], 0x0
	v_mad_u64_u32 v[11:12], null, v5, s24, 0
	s_load_dwordx2 s[24:25], s[2:3], 0x0
	s_add_u32 s22, s22, 1
	s_addc_u32 s23, s23, 0
	s_add_u32 s2, s2, 8
	s_addc_u32 s3, s3, 0
	s_add_u32 s6, s6, 8
	v_add3_u32 v4, v12, v13, v4
	v_sub_co_u32 v9, vcc_lo, v9, v11
	s_addc_u32 s7, s7, 0
	s_add_u32 s20, s20, 8
	v_sub_co_ci_u32_e32 v4, vcc_lo, v10, v4, vcc_lo
	s_addc_u32 s21, s21, 0
	s_waitcnt lgkmcnt(0)
	v_mul_lo_u32 v10, s0, v4
	v_mul_lo_u32 v11, s1, v9
	v_mad_u64_u32 v[7:8], null, s0, v9, v[7:8]
	v_mul_lo_u32 v4, s24, v4
	v_mul_lo_u32 v12, s25, v9
	v_mad_u64_u32 v[1:2], null, s24, v9, v[1:2]
	v_cmp_ge_u64_e64 s0, s[22:23], s[14:15]
	v_add3_u32 v8, v11, v8, v10
	v_add3_u32 v2, v12, v2, v4
	s_and_b32 vcc_lo, exec_lo, s0
	s_cbranch_vccnz .LBB0_9
; %bb.7:                                ;   in Loop: Header=BB0_2 Depth=1
	v_mov_b32_e32 v10, v6
	v_mov_b32_e32 v9, v5
	s_branch .LBB0_2
.LBB0_8:
	v_mov_b32_e32 v1, v7
	v_mov_b32_e32 v5, v9
	;; [unrolled: 1-line block ×4, first 2 shown]
.LBB0_9:
	s_load_dwordx2 s[0:1], s[4:5], 0x28
	v_mul_hi_u32 v4, 0x183c978, v0
	s_lshl_b64 s[4:5], s[14:15], 3
                                        ; implicit-def: $vgpr3
	s_add_u32 s2, s18, s4
	s_addc_u32 s3, s19, s5
	s_waitcnt lgkmcnt(0)
	v_cmp_gt_u64_e32 vcc_lo, s[0:1], v[5:6]
	v_cmp_le_u64_e64 s0, s[0:1], v[5:6]
	s_and_saveexec_b32 s1, s0
	s_xor_b32 s0, exec_lo, s1
; %bb.10:
	v_mul_u32_u24_e32 v3, 0xa9, v4
                                        ; implicit-def: $vgpr4
                                        ; implicit-def: $vgpr7_vgpr8
	v_sub_nc_u32_e32 v3, v0, v3
                                        ; implicit-def: $vgpr0
; %bb.11:
	s_andn2_saveexec_b32 s1, s0
	s_cbranch_execz .LBB0_13
; %bb.12:
	s_add_u32 s4, s16, s4
	s_addc_u32 s5, s17, s5
	v_lshlrev_b64 v[7:8], 2, v[7:8]
	s_load_dwordx2 s[4:5], s[4:5], 0x0
	s_waitcnt lgkmcnt(0)
	v_mul_lo_u32 v3, s5, v5
	v_mul_lo_u32 v11, s4, v6
	v_mad_u64_u32 v[9:10], null, s4, v5, 0
	v_add3_u32 v10, v10, v11, v3
	v_mul_u32_u24_e32 v3, 0xa9, v4
	v_lshlrev_b64 v[9:10], 2, v[9:10]
	v_sub_nc_u32_e32 v3, v0, v3
	v_lshlrev_b32_e32 v13, 2, v3
	v_add_co_u32 v0, s0, s8, v9
	v_add_co_ci_u32_e64 v4, s0, s9, v10, s0
	v_add_co_u32 v0, s0, v0, v7
	v_add_co_ci_u32_e64 v4, s0, v4, v8, s0
	;; [unrolled: 2-line block ×5, first 2 shown]
	s_clause 0x9
	global_load_dword v0, v[7:8], off
	global_load_dword v4, v[7:8], off offset:676
	global_load_dword v14, v[7:8], off offset:1352
	global_load_dword v7, v[7:8], off offset:2028
	global_load_dword v8, v[9:10], off offset:656
	global_load_dword v15, v[9:10], off offset:1332
	global_load_dword v9, v[9:10], off offset:2008
	global_load_dword v10, v[11:12], off offset:636
	global_load_dword v16, v[11:12], off offset:1312
	global_load_dword v11, v[11:12], off offset:1988
	v_add_nc_u32_e32 v12, 0, v13
	v_add_nc_u32_e32 v13, 0x400, v12
	;; [unrolled: 1-line block ×5, first 2 shown]
	s_waitcnt vmcnt(8)
	ds_write2_b32 v12, v0, v4 offset1:169
	s_waitcnt vmcnt(6)
	ds_write2_b32 v13, v14, v7 offset0:82 offset1:251
	s_waitcnt vmcnt(4)
	ds_write2_b32 v17, v8, v15 offset0:36 offset1:205
	;; [unrolled: 2-line block ×4, first 2 shown]
.LBB0_13:
	s_or_b32 exec_lo, exec_lo, s1
	v_lshl_add_u32 v0, v3, 2, 0
	s_waitcnt lgkmcnt(0)
	s_barrier
	buffer_gl0_inv
	v_mov_b32_e32 v4, 0xb770
	ds_read_b32 v26, v0 offset:6240
	ds_read2_b32 v[13:14], v0 offset1:130
	v_add_nc_u32_e32 v24, 0x400, v0
	v_add_nc_u32_e32 v25, 0x1400, v0
	;; [unrolled: 1-line block ×4, first 2 shown]
	ds_read2_b32 v[15:16], v24 offset0:4 offset1:134
	ds_read2_b32 v[9:10], v25 offset0:20 offset1:150
	;; [unrolled: 1-line block ×4, first 2 shown]
	v_mov_b32_e32 v82, 0xba95
	v_mov_b32_e32 v52, 0xbbf1
	;; [unrolled: 1-line block ×6, first 2 shown]
	v_cmp_gt_u32_e64 s0, 0x82, v3
	s_waitcnt lgkmcnt(4)
	v_pk_add_f16 v27, v14, v26 neg_lo:[0,1] neg_hi:[0,1]
	v_pk_add_f16 v29, v26, v14
	v_mul_f16_sdwa v45, v27, v4 dst_sel:DWORD dst_unused:UNUSED_PAD src0_sel:WORD_1 src1_sel:DWORD
	v_lshrrev_b32_e32 v38, 16, v29
	v_mul_f16_e32 v50, 0xba95, v27
	v_mul_f16_e32 v66, 0xbbf1, v27
	s_waitcnt lgkmcnt(2)
	v_pk_add_f16 v31, v10, v15
	v_pk_add_f16 v28, v15, v10 neg_lo:[0,1] neg_hi:[0,1]
	v_fmamk_f16 v4, v29, 0x3b15, v45
	v_fma_f16 v7, v38, 0x388b, -v50
	v_fma_f16 v19, v38, 0x2fb7, -v66
	v_lshrrev_b32_e32 v36, 16, v31
	v_mul_f16_sdwa v43, v28, v82 dst_sel:DWORD dst_unused:UNUSED_PAD src0_sel:WORD_1 src1_sel:DWORD
	v_mul_f16_e32 v51, 0xbb7b, v28
	v_mul_f16_e32 v67, 0xb3a8, v28
	v_pk_add_f16 v30, v16, v9 neg_lo:[0,1] neg_hi:[0,1]
	v_add_f16_e32 v4, v13, v4
	v_add_f16_sdwa v7, v13, v7 dst_sel:DWORD dst_unused:UNUSED_PAD src0_sel:WORD_1 src1_sel:DWORD
	v_add_f16_sdwa v19, v13, v19 dst_sel:DWORD dst_unused:UNUSED_PAD src0_sel:WORD_1 src1_sel:DWORD
	v_fmamk_f16 v20, v31, 0x388b, v43
	v_fma_f16 v22, v36, 0xb5ac, -v51
	v_fma_f16 v33, v36, 0xbbc4, -v67
	v_pk_add_f16 v32, v9, v16
	v_mul_f16_sdwa v46, v30, v52 dst_sel:DWORD dst_unused:UNUSED_PAD src0_sel:WORD_1 src1_sel:DWORD
	v_mul_f16_sdwa v56, v27, v52 dst_sel:DWORD dst_unused:UNUSED_PAD src0_sel:WORD_1 src1_sel:DWORD
	v_add_f16_e32 v4, v20, v4
	v_add_f16_e32 v7, v22, v7
	;; [unrolled: 1-line block ×3, first 2 shown]
	v_fmamk_f16 v20, v32, 0x2fb7, v46
	v_mov_b32_e32 v22, 0x3b7b
	v_lshrrev_b32_e32 v39, 16, v32
	s_waitcnt lgkmcnt(0)
	v_pk_add_f16 v33, v17, v12 neg_lo:[0,1] neg_hi:[0,1]
	v_mul_f16_e32 v57, 0xb3a8, v30
	v_mul_f16_e32 v77, 0x3b7b, v30
	v_fmamk_f16 v8, v29, 0x2fb7, v56
	v_mul_f16_sdwa v58, v28, v21 dst_sel:DWORD dst_unused:UNUSED_PAD src0_sel:WORD_1 src1_sel:DWORD
	v_mul_f16_sdwa v62, v30, v22 dst_sel:DWORD dst_unused:UNUSED_PAD src0_sel:WORD_1 src1_sel:DWORD
	v_pk_add_f16 v34, v12, v17
	v_mul_f16_sdwa v47, v33, v83 dst_sel:DWORD dst_unused:UNUSED_PAD src0_sel:WORD_1 src1_sel:DWORD
	v_fma_f16 v22, v39, 0xbbc4, -v57
	v_add_f16_e32 v4, v20, v4
	v_fma_f16 v20, v39, 0xb5ac, -v77
	v_add_f16_e32 v8, v13, v8
	v_fmamk_f16 v23, v31, 0xbbc4, v58
	v_fmamk_f16 v35, v34, 0xb5ac, v47
	v_add_f16_e32 v7, v22, v7
	v_add_f16_e32 v22, v20, v19
	v_add_nc_u32_e32 v19, 0xc00, v0
	v_add_f16_e32 v8, v23, v8
	v_fmamk_f16 v23, v32, 0xb5ac, v62
	v_add_f16_e32 v4, v35, v4
	v_mul_f16_sdwa v63, v33, v78 dst_sel:DWORD dst_unused:UNUSED_PAD src0_sel:WORD_1 src1_sel:DWORD
	v_pk_add_f16 v35, v18, v11 neg_lo:[0,1] neg_hi:[0,1]
	ds_read2_b32 v[19:20], v19 offset0:12 offset1:142
	v_add_f16_e32 v8, v23, v8
	v_pk_add_f16 v37, v11, v18
	v_fmamk_f16 v40, v34, 0x3b15, v63
	v_mul_f16_sdwa v48, v35, v85 dst_sel:DWORD dst_unused:UNUSED_PAD src0_sel:WORD_1 src1_sel:DWORD
	v_lshrrev_b32_e32 v41, 16, v34
	v_mul_f16_e32 v60, 0x394e, v33
	v_mul_f16_e32 v76, 0x3770, v33
	v_add_f16_e32 v8, v40, v8
	v_fmamk_f16 v40, v37, 0xb9fd, v48
	v_mul_f16_sdwa v75, v35, v82 dst_sel:DWORD dst_unused:UNUSED_PAD src0_sel:WORD_1 src1_sel:DWORD
	v_fma_f16 v23, v41, 0xb9fd, -v60
	v_fma_f16 v42, v41, 0x3b15, -v76
	v_lshrrev_b32_e32 v44, 16, v37
	v_mul_f16_e32 v64, 0x3bf1, v35
	v_add_f16_e32 v4, v40, v4
	v_fmamk_f16 v40, v37, 0x388b, v75
	v_add_f16_e32 v7, v23, v7
	v_add_f16_e32 v22, v42, v22
	v_pk_mul_f16 v23, 0x3b15388b, v29
	v_fma_f16 v42, v44, 0x2fb7, -v64
	v_add_f16_e32 v8, v40, v8
	s_waitcnt lgkmcnt(0)
	v_pk_add_f16 v40, v19, v20 neg_lo:[0,1] neg_hi:[0,1]
	v_pk_mul_f16 v49, 0x388bb5ac, v31
	v_pk_fma_f16 v55, 0xba95b770, v27, v23 op_sel:[0,0,1] op_sel_hi:[1,1,0]
	v_add_f16_e32 v86, v42, v7
	v_pk_add_f16 v42, v20, v19
	v_mul_f16_sdwa v53, v40, v21 dst_sel:DWORD dst_unused:UNUSED_PAD src0_sel:WORD_1 src1_sel:DWORD
	v_pk_fma_f16 v70, 0xba95b770, v27, v23 op_sel:[0,0,1] op_sel_hi:[1,1,0] neg_lo:[0,1,0] neg_hi:[0,1,0]
	v_pk_fma_f16 v54, 0xbb7bba95, v28, v49 op_sel:[0,0,1] op_sel_hi:[1,1,0]
	v_add_f16_sdwa v7, v13, v55 dst_sel:DWORD dst_unused:UNUSED_PAD src0_sel:DWORD src1_sel:WORD_1
	v_pk_mul_f16 v69, 0x2fb7bbc4, v32
	v_mul_f16_e32 v80, 0xba95, v35
	v_fmamk_f16 v23, v42, 0xbbc4, v53
	v_pk_fma_f16 v68, 0xbb7bba95, v28, v49 op_sel:[0,0,1] op_sel_hi:[1,1,0] neg_lo:[0,1,0] neg_hi:[0,1,0]
	v_add_f16_sdwa v49, v13, v70 dst_sel:DWORD dst_unused:UNUSED_PAD src0_sel:WORD_1 src1_sel:DWORD
	v_add_f16_sdwa v7, v54, v7 dst_sel:DWORD dst_unused:UNUSED_PAD src0_sel:WORD_1 src1_sel:DWORD
	v_pk_fma_f16 v59, 0xb3a8bbf1, v30, v69 op_sel:[0,0,1] op_sel_hi:[1,1,0]
	v_pk_mul_f16 v71, 0xb5acb9fd, v34
	v_fma_f16 v65, v44, 0x388b, -v80
	v_add_f16_e32 v4, v23, v4
	v_pk_fma_f16 v73, 0xb3a8bbf1, v30, v69 op_sel:[0,0,1] op_sel_hi:[1,1,0] neg_lo:[0,1,0] neg_hi:[0,1,0]
	v_add_f16_e32 v23, v68, v49
	v_add_f16_sdwa v7, v59, v7 dst_sel:DWORD dst_unused:UNUSED_PAD src0_sel:WORD_1 src1_sel:DWORD
	v_pk_fma_f16 v61, 0x394ebb7b, v33, v71 op_sel:[0,0,1] op_sel_hi:[1,1,0]
	v_add_f16_e32 v21, v65, v22
	v_pk_mul_f16 v22, 0xb9fd2fb7, v37
	v_pk_fma_f16 v71, 0x394ebb7b, v33, v71 op_sel:[0,0,1] op_sel_hi:[1,1,0] neg_lo:[0,1,0] neg_hi:[0,1,0]
	v_add_f16_e32 v23, v73, v23
	v_add_f16_sdwa v7, v61, v7 dst_sel:DWORD dst_unused:UNUSED_PAD src0_sel:WORD_1 src1_sel:DWORD
	v_mul_f16_sdwa v79, v40, v85 dst_sel:DWORD dst_unused:UNUSED_PAD src0_sel:WORD_1 src1_sel:DWORD
	v_pk_fma_f16 v65, 0x3bf1b94e, v35, v22 op_sel:[0,0,1] op_sel_hi:[1,1,0]
	v_pk_mul_f16 v72, 0xbbc43b15, v42
	v_lshrrev_b32_e32 v49, 16, v42
	v_mul_f16_e32 v81, 0x3770, v40
	v_mul_f16_e32 v84, 0xb94e, v40
	v_pk_fma_f16 v74, 0x3bf1b94e, v35, v22 op_sel:[0,0,1] op_sel_hi:[1,1,0] neg_lo:[0,1,0] neg_hi:[0,1,0]
	v_add_f16_e32 v22, v71, v23
	v_add_f16_sdwa v87, v65, v7 dst_sel:DWORD dst_unused:UNUSED_PAD src0_sel:WORD_1 src1_sel:DWORD
	v_fmamk_f16 v7, v42, 0xb9fd, v79
	v_pk_fma_f16 v69, 0x3770b3a8, v40, v72 op_sel:[0,0,1] op_sel_hi:[1,1,0]
	v_fma_f16 v23, v49, 0x3b15, -v81
	v_fma_f16 v88, v49, 0xb9fd, -v84
	v_pk_fma_f16 v72, 0x3770b3a8, v40, v72 op_sel:[0,0,1] op_sel_hi:[1,1,0] neg_lo:[0,1,0] neg_hi:[0,1,0]
	v_add_f16_e32 v22, v74, v22
	v_add_f16_e32 v7, v7, v8
	v_add_f16_sdwa v8, v69, v87 dst_sel:DWORD dst_unused:UNUSED_PAD src0_sel:WORD_1 src1_sel:DWORD
	v_add_f16_e32 v23, v23, v86
	v_add_f16_e32 v21, v88, v21
	;; [unrolled: 1-line block ×3, first 2 shown]
	s_barrier
	buffer_gl0_inv
	s_and_saveexec_b32 s1, s0
	s_cbranch_execz .LBB0_15
; %bb.14:
	v_mul_f16_e32 v86, 0xb94e, v27
	v_mul_f16_e32 v88, 0x3bf1, v28
	v_mul_f16_sdwa v85, v27, v85 dst_sel:DWORD dst_unused:UNUSED_PAD src0_sel:WORD_1 src1_sel:DWORD
	v_mov_b32_e32 v87, 0x3bf1
	v_mul_f16_e32 v89, 0xba95, v30
	v_fmamk_f16 v90, v38, 0xb9fd, v86
	v_fmamk_f16 v92, v36, 0x2fb7, v88
	v_fma_f16 v91, v29, 0xb9fd, -v85
	v_mul_f16_sdwa v87, v28, v87 dst_sel:DWORD dst_unused:UNUSED_PAD src0_sel:WORD_1 src1_sel:DWORD
	v_fmamk_f16 v94, v39, 0x388b, v89
	v_add_f16_sdwa v90, v13, v90 dst_sel:DWORD dst_unused:UNUSED_PAD src0_sel:WORD_1 src1_sel:DWORD
	v_mul_f16_e32 v96, 0xbb7b, v27
	v_mul_f16_sdwa v82, v30, v82 dst_sel:DWORD dst_unused:UNUSED_PAD src0_sel:WORD_1 src1_sel:DWORD
	v_add_f16_e32 v91, v13, v91
	v_fma_f16 v93, v31, 0x2fb7, -v87
	v_add_f16_e32 v90, v92, v90
	v_mul_f16_e32 v92, 0x33a8, v33
	v_mul_f16_e32 v97, 0x3770, v35
	v_fmamk_f16 v98, v38, 0xb5ac, v96
	v_mul_f16_e32 v99, 0x394e, v28
	v_add_f16_e32 v90, v94, v90
	v_fmamk_f16 v94, v41, 0xbbc4, v92
	v_fma_f16 v95, v32, 0x388b, -v82
	v_add_f16_e32 v91, v93, v91
	v_mov_b32_e32 v93, 0x33a8
	v_fmamk_f16 v100, v44, 0x3b15, v97
	v_add_f16_e32 v90, v94, v90
	v_add_f16_sdwa v98, v13, v98 dst_sel:DWORD dst_unused:UNUSED_PAD src0_sel:WORD_1 src1_sel:DWORD
	v_fmamk_f16 v101, v36, 0xb9fd, v99
	v_mul_f16_e32 v102, 0x3770, v30
	v_add_f16_e32 v91, v95, v91
	v_mul_f16_sdwa v95, v33, v93 dst_sel:DWORD dst_unused:UNUSED_PAD src0_sel:WORD_1 src1_sel:DWORD
	v_add_f16_e32 v90, v100, v90
	v_add_f16_e32 v98, v101, v98
	v_fmamk_f16 v100, v39, 0x3b15, v102
	v_mul_f16_e32 v101, 0xbbf1, v33
	v_fma_f16 v94, v34, 0xbbc4, -v95
	v_mul_f16_e32 v106, 0x33a8, v35
	v_mul_f16_e32 v104, 0xbb7b, v40
	v_add_f16_e32 v98, v100, v98
	v_fmamk_f16 v100, v41, 0x2fb7, v101
	v_add_f16_e32 v91, v94, v91
	v_mul_f16_sdwa v94, v35, v78 dst_sel:DWORD dst_unused:UNUSED_PAD src0_sel:WORD_1 src1_sel:DWORD
	v_mul_f16_sdwa v105, v40, v83 dst_sel:DWORD dst_unused:UNUSED_PAD src0_sel:WORD_1 src1_sel:DWORD
	v_fmamk_f16 v107, v49, 0xb5ac, v104
	v_add_f16_e32 v98, v100, v98
	v_fmamk_f16 v100, v44, 0xbbc4, v106
	v_fma_f16 v103, v37, 0x3b15, -v94
	v_mul_f16_sdwa v83, v27, v83 dst_sel:DWORD dst_unused:UNUSED_PAD src0_sel:WORD_1 src1_sel:DWORD
	v_add_f16_e32 v90, v107, v90
	v_mov_b32_e32 v107, 0x394e
	v_add_f16_e32 v98, v100, v98
	v_mul_f16_e32 v100, 0x2fb7, v38
	v_add_f16_e32 v91, v103, v91
	v_fma_f16 v103, v42, 0xb5ac, -v105
	v_mul_f16_e32 v109, 0xbbc4, v36
	v_mul_f16_sdwa v107, v28, v107 dst_sel:DWORD dst_unused:UNUSED_PAD src0_sel:WORD_1 src1_sel:DWORD
	v_add_f16_e32 v66, v66, v100
	v_mul_f16_sdwa v78, v30, v78 dst_sel:DWORD dst_unused:UNUSED_PAD src0_sel:WORD_1 src1_sel:DWORD
	v_add_f16_e32 v91, v103, v91
	v_fma_f16 v103, v29, 0xb5ac, -v83
	v_add_f16_e32 v67, v67, v109
	v_add_f16_sdwa v66, v13, v66 dst_sel:DWORD dst_unused:UNUSED_PAD src0_sel:WORD_1 src1_sel:DWORD
	v_mul_f16_e32 v109, 0xb5ac, v39
	v_mul_f16_e32 v108, 0x3a95, v40
	v_add_f16_e32 v100, v13, v103
	v_fma_f16 v103, v31, 0xb9fd, -v107
	v_add_f16_e32 v66, v67, v66
	v_add_f16_e32 v67, v77, v109
	v_mul_f16_e32 v77, 0x2fb7, v29
	v_mul_f16_e32 v109, 0xbbc4, v31
	v_add_f16_e32 v100, v103, v100
	v_fma_f16 v103, v32, 0x3b15, -v78
	v_fmamk_f16 v110, v49, 0x388b, v108
	v_sub_f16_e32 v56, v77, v56
	v_sub_f16_e32 v58, v109, v58
	v_add_f16_e32 v66, v67, v66
	v_add_f16_e32 v100, v103, v100
	v_mul_f16_e32 v103, 0x3b15, v41
	v_add_f16_e32 v56, v13, v56
	v_add_f16_e32 v77, v110, v98
	v_mul_f16_e32 v98, 0xb5ac, v32
	v_pk_add_f16 v14, v13, v14
	v_add_f16_e32 v76, v76, v103
	v_add_f16_e32 v56, v58, v56
	v_mul_f16_e32 v58, 0x388b, v38
	v_sub_f16_e32 v62, v98, v62
	v_mul_f16_e32 v98, 0xb5ac, v36
	v_add_f16_e32 v66, v76, v66
	v_mul_f16_e32 v76, 0x388b, v44
	v_add_f16_e32 v50, v50, v58
	v_add_f16_e32 v56, v62, v56
	;; [unrolled: 1-line block ×3, first 2 shown]
	v_mul_f16_e32 v98, 0xbbc4, v39
	v_add_f16_e32 v58, v80, v76
	v_mul_f16_e32 v76, 0x3b15, v34
	v_add_f16_sdwa v50, v13, v50 dst_sel:DWORD dst_unused:UNUSED_PAD src0_sel:WORD_1 src1_sel:DWORD
	v_pk_add_f16 v14, v14, v15
	v_fma_f16 v15, v36, 0xb9fd, -v99
	v_mul_f16_sdwa v52, v33, v52 dst_sel:DWORD dst_unused:UNUSED_PAD src0_sel:WORD_1 src1_sel:DWORD
	v_sub_f16_e32 v62, v76, v63
	v_add_f16_e32 v50, v51, v50
	v_add_f16_e32 v51, v57, v98
	;; [unrolled: 1-line block ×3, first 2 shown]
	v_mul_f16_e32 v58, 0xb9fd, v41
	v_add_f16_e32 v56, v62, v56
	v_mul_f16_e32 v62, 0x388b, v37
	v_add_f16_e32 v50, v51, v50
	v_pk_add_f16 v14, v14, v16
	v_add_f16_e32 v58, v60, v58
	v_mov_b32_e32 v60, 0x3a95
	v_sub_f16_e32 v62, v62, v75
	v_mul_f16_e32 v66, 0x2fb7, v44
	v_pk_add_f16 v14, v14, v17
	v_add_f16_e32 v50, v58, v50
	v_mul_f16_sdwa v58, v40, v60 dst_sel:DWORD dst_unused:UNUSED_PAD src0_sel:WORD_1 src1_sel:DWORD
	v_mul_f16_e32 v60, 0xb9fd, v42
	v_add_f16_e32 v56, v62, v56
	v_mul_f16_e32 v51, 0xb9fd, v49
	v_add_f16_e32 v64, v64, v66
	v_mul_f16_e32 v66, 0x3b15, v49
	v_sub_f16_e32 v60, v60, v79
	v_fma_f16 v16, v39, 0x3b15, -v102
	v_pk_add_f16 v14, v14, v18
	v_fma_f16 v67, v34, 0x2fb7, -v52
	v_mul_f16_sdwa v93, v35, v93 dst_sel:DWORD dst_unused:UNUSED_PAD src0_sel:WORD_1 src1_sel:DWORD
	v_add_f16_e32 v56, v60, v56
	v_fma_f16 v60, v38, 0xb9fd, -v86
	v_fma_f16 v38, v38, 0xb5ac, -v96
	v_add_f16_e32 v51, v84, v51
	v_add_f16_e32 v50, v64, v50
	v_add_f16_e32 v64, v81, v66
	v_mul_f16_e32 v66, 0x3b15, v29
	v_add_f16_sdwa v38, v13, v38 dst_sel:DWORD dst_unused:UNUSED_PAD src0_sel:WORD_1 src1_sel:DWORD
	v_pk_add_f16 v14, v14, v19
	v_add_f16_e32 v67, v67, v100
	v_fma_f16 v80, v37, 0xbbc4, -v93
	v_add_f16_e32 v51, v51, v57
	v_add_f16_e32 v15, v15, v38
	v_mul_f16_e32 v57, 0x388b, v31
	v_sub_f16_e32 v45, v66, v45
	v_pk_add_f16 v14, v14, v20
	v_add_f16_e32 v63, v80, v67
	v_add_f16_e32 v15, v16, v15
	v_fma_f16 v16, v41, 0x2fb7, -v101
	v_fma_f16 v62, v42, 0x388b, -v58
	v_sub_f16_e32 v43, v57, v43
	v_add_f16_e32 v45, v13, v45
	v_mul_f16_e32 v57, 0x2fb7, v32
	v_add_f16_e32 v15, v16, v15
	v_fma_f16 v16, v44, 0xbbc4, -v106
	v_pk_add_f16 v11, v14, v11
	v_add_f16_e32 v62, v62, v63
	v_add_f16_sdwa v60, v13, v60 dst_sel:DWORD dst_unused:UNUSED_PAD src0_sel:WORD_1 src1_sel:DWORD
	v_fma_f16 v63, v36, 0x2fb7, -v88
	v_add_f16_e32 v15, v16, v15
	v_fma_f16 v16, v49, 0x388b, -v108
	v_bfi_b32 v55, 0xffff, v55, v70
	v_add_f16_e32 v43, v43, v45
	v_sub_f16_e32 v45, v57, v46
	v_alignbit_b32 v57, v13, v13, 16
	v_add_f16_e32 v14, v16, v15
	v_pk_mul_f16 v16, 0xbbc4, v29 op_sel_hi:[0,1]
	v_pk_add_f16 v11, v11, v12
	v_add_f16_e32 v46, v63, v60
	v_bfi_b32 v60, 0xffff, v61, v71
	v_mul_f16_e32 v61, 0xb5ac, v34
	v_fma_f16 v63, v39, 0x388b, -v89
	v_bfi_b32 v54, 0xffff, v54, v68
	v_pk_add_f16 v15, v57, v55
	v_pk_fma_f16 v18, 0xb3a8, v27, v16 op_sel:[0,0,1] op_sel_hi:[0,1,0] neg_lo:[0,1,0] neg_hi:[0,1,0]
	v_pk_mul_f16 v19, 0x3b15, v31 op_sel_hi:[0,1]
	v_pk_add_f16 v9, v11, v9
	v_pk_fma_f16 v11, 0xb3a8, v27, v16 op_sel:[0,0,1] op_sel_hi:[0,1,0]
	v_add_f16_e32 v50, v64, v50
	v_bfi_b32 v64, 0xffff, v65, v74
	v_mul_f16_e32 v65, 0xb9fd, v37
	v_add_f16_e32 v43, v45, v43
	v_sub_f16_e32 v47, v61, v47
	v_add_f16_e32 v46, v63, v46
	v_fma_f16 v61, v41, 0xbbc4, -v92
	v_fmac_f16_e32 v85, 0xb9fd, v29
	v_fmac_f16_e32 v83, 0xb5ac, v29
	v_bfi_b32 v59, 0xffff, v59, v73
	v_pk_add_f16 v15, v54, v15
	v_pk_add_f16 v16, v57, v18
	v_pk_fma_f16 v18, 0x3770, v28, v19 op_sel:[0,0,1] op_sel_hi:[0,1,0] neg_lo:[0,1,0] neg_hi:[0,1,0]
	v_pk_mul_f16 v20, 0xb9fd, v32 op_sel_hi:[0,1]
	v_pk_add_f16 v11, v57, v11
	v_pk_fma_f16 v19, 0x3770, v28, v19 op_sel:[0,0,1] op_sel_hi:[0,1,0]
	v_mul_f16_e32 v45, 0xbbc4, v42
	v_add_f16_e32 v43, v47, v43
	v_sub_f16_e32 v47, v65, v48
	v_add_f16_e32 v46, v61, v46
	v_fma_f16 v48, v44, 0x3b15, -v97
	v_add_f16_e32 v61, v13, v85
	v_fmac_f16_e32 v87, 0x2fb7, v31
	v_add_f16_e32 v13, v13, v83
	v_fmac_f16_e32 v107, 0xb9fd, v31
	v_pk_add_f16 v15, v59, v15
	v_pk_add_f16 v16, v18, v16
	v_pk_fma_f16 v18, 0xb94e, v30, v20 op_sel:[0,0,1] op_sel_hi:[0,1,0] neg_lo:[0,1,0] neg_hi:[0,1,0]
	v_pk_mul_f16 v27, 0x388b, v34 op_sel_hi:[0,1]
	v_pk_add_f16 v11, v19, v11
	v_pk_fma_f16 v19, 0xb94e, v30, v20 op_sel:[0,0,1] op_sel_hi:[0,1,0]
	v_add_f16_e32 v43, v47, v43
	v_sub_f16_e32 v45, v45, v53
	v_add_f16_e32 v46, v48, v46
	v_fma_f16 v47, v49, 0xb5ac, -v104
	v_add_f16_e32 v48, v87, v61
	v_fmac_f16_e32 v82, 0x388b, v32
	v_add_f16_e32 v13, v107, v13
	v_fmac_f16_e32 v78, 0x3b15, v32
	v_pk_add_f16 v15, v60, v15
	v_pk_add_f16 v16, v18, v16
	v_pk_fma_f16 v18, 0x3a95, v33, v27 op_sel:[0,0,1] op_sel_hi:[0,1,0] neg_lo:[0,1,0] neg_hi:[0,1,0]
	v_pk_mul_f16 v20, 0xb5ac, v37 op_sel_hi:[0,1]
	v_pk_add_f16 v11, v19, v11
	v_pk_fma_f16 v19, 0x3a95, v33, v27 op_sel:[0,0,1] op_sel_hi:[0,1,0]
	v_add_f16_e32 v43, v45, v43
	v_add_f16_e32 v45, v47, v46
	v_add_f16_e32 v46, v82, v48
	v_fmac_f16_e32 v95, 0xbbc4, v34
	v_add_f16_e32 v13, v78, v13
	v_fmac_f16_e32 v52, 0x2fb7, v34
	v_bfi_b32 v63, 0xffff, v69, v72
	v_pk_add_f16 v15, v64, v15
	v_pk_add_f16 v16, v18, v16
	v_pk_fma_f16 v18, 0xbb7b, v35, v20 op_sel:[0,0,1] op_sel_hi:[0,1,0] neg_lo:[0,1,0] neg_hi:[0,1,0]
	v_pk_mul_f16 v27, 0x2fb7, v42 op_sel_hi:[0,1]
	v_pk_add_f16 v11, v19, v11
	v_pk_fma_f16 v19, 0xbb7b, v35, v20 op_sel:[0,0,1] op_sel_hi:[0,1,0]
	v_add_f16_e32 v36, v95, v46
	v_fmac_f16_e32 v94, 0x3b15, v37
	v_add_f16_e32 v13, v52, v13
	v_fmac_f16_e32 v93, 0xbbc4, v37
	v_pk_add_f16 v15, v63, v15
	v_pk_add_f16 v16, v18, v16
	v_pk_fma_f16 v18, 0x3bf1, v40, v27 op_sel:[0,0,1] op_sel_hi:[0,1,0] neg_lo:[0,1,0] neg_hi:[0,1,0]
	v_pk_add_f16 v11, v19, v11
	v_pk_fma_f16 v19, 0x3bf1, v40, v27 op_sel:[0,0,1] op_sel_hi:[0,1,0]
	v_add_f16_e32 v17, v94, v36
	v_fmac_f16_e32 v105, 0xb5ac, v42
	v_add_f16_e32 v13, v93, v13
	v_fmac_f16_e32 v58, 0x388b, v42
	v_mad_u32_u24 v12, v3, 48, v0
	v_pk_add_f16 v9, v9, v10
	v_alignbit_b32 v10, v50, v15, 16
	v_pack_b32_f16 v15, v43, v15
	v_pack_b32_f16 v20, v56, v51
	;; [unrolled: 1-line block ×3, first 2 shown]
	v_pk_add_f16 v16, v18, v16
	v_pk_add_f16 v11, v19, v11
	v_add_f16_e32 v17, v105, v17
	v_add_f16_e32 v13, v58, v13
	v_pk_add_f16 v9, v9, v26
	ds_write2_b32 v12, v15, v10 offset0:1 offset1:2
	ds_write2_b32 v12, v20, v27 offset0:3 offset1:4
	v_pack_b32_f16 v10, v91, v90
	v_alignbit_b32 v15, v16, v11, 16
	v_alignbit_b32 v11, v11, v16, 16
	v_pack_b32_f16 v13, v13, v14
	v_pack_b32_f16 v14, v17, v45
	v_perm_b32 v16, v23, v8, 0x5040100
	v_perm_b32 v17, v21, v7, 0x5040100
	;; [unrolled: 1-line block ×3, first 2 shown]
	ds_write2_b32 v12, v9, v10 offset1:5
	ds_write2_b32 v12, v11, v15 offset0:6 offset1:7
	ds_write2_b32 v12, v14, v13 offset0:8 offset1:9
	;; [unrolled: 1-line block ×3, first 2 shown]
	ds_write_b32 v12, v18 offset:48
.LBB0_15:
	s_or_b32 exec_lo, exec_lo, s1
	v_and_b32_e32 v9, 0xff, v3
	v_mov_b32_e32 v10, 9
	s_load_dwordx2 s[2:3], s[2:3], 0x0
	s_waitcnt lgkmcnt(0)
	s_barrier
	v_mul_lo_u16 v9, 0x4f, v9
	buffer_gl0_inv
	v_add_nc_u32_e32 v28, 0xa00, v0
	v_mov_b32_e32 v33, 0x208
	v_mov_b32_e32 v34, 2
	v_lshrrev_b16 v30, 10, v9
	v_mul_lo_u16 v9, v30, 13
	v_mul_u32_u24_sdwa v30, v30, v33 dst_sel:DWORD dst_unused:UNUSED_PAD src0_sel:WORD_0 src1_sel:DWORD
	v_sub_nc_u16 v31, v3, v9
	v_mul_u32_u24_sdwa v9, v31, v10 dst_sel:DWORD dst_unused:UNUSED_PAD src0_sel:BYTE_0 src1_sel:DWORD
	v_lshlrev_b32_sdwa v31, v34, v31 dst_sel:DWORD dst_unused:UNUSED_PAD src0_sel:DWORD src1_sel:BYTE_0
	v_lshlrev_b32_e32 v17, 2, v9
	v_add3_u32 v30, 0, v30, v31
	s_clause 0x2
	global_load_dwordx4 v[9:12], v17, s[12:13]
	global_load_dwordx4 v[13:16], v17, s[12:13] offset:16
	global_load_dword v32, v17, s[12:13] offset:32
	ds_read2_b32 v[26:27], v0 offset1:169
	ds_read2_b32 v[17:18], v25 offset0:72 offset1:241
	v_add_nc_u32_e32 v25, 0xf00, v0
	ds_read2_b32 v[19:20], v24 offset0:82 offset1:251
	ds_read2_b32 v[24:25], v25 offset0:54 offset1:223
	;; [unrolled: 1-line block ×3, first 2 shown]
	s_waitcnt vmcnt(0) lgkmcnt(0)
	s_barrier
	buffer_gl0_inv
	v_lshrrev_b32_e32 v37, 16, v27
	v_lshrrev_b32_e32 v35, 16, v17
	;; [unrolled: 1-line block ×10, first 2 shown]
	v_mul_f16_sdwa v31, v9, v37 dst_sel:DWORD dst_unused:UNUSED_PAD src0_sel:WORD_1 src1_sel:DWORD
	v_mul_f16_sdwa v43, v9, v27 dst_sel:DWORD dst_unused:UNUSED_PAD src0_sel:WORD_1 src1_sel:DWORD
	;; [unrolled: 1-line block ×10, first 2 shown]
	v_mul_f16_sdwa v52, v34, v14 dst_sel:DWORD dst_unused:UNUSED_PAD src0_sel:DWORD src1_sel:WORD_1
	v_mul_f16_sdwa v53, v24, v14 dst_sel:DWORD dst_unused:UNUSED_PAD src0_sel:DWORD src1_sel:WORD_1
	;; [unrolled: 1-line block ×8, first 2 shown]
	v_fma_f16 v27, v9, v27, -v31
	v_fmac_f16_e32 v43, v9, v37
	v_fma_f16 v9, v10, v19, -v44
	v_fmac_f16_e32 v45, v10, v38
	;; [unrolled: 2-line block ×9, first 2 shown]
	v_add_f16_e32 v17, v26, v9
	v_add_f16_e32 v18, v11, v13
	v_sub_f16_e32 v24, v9, v11
	v_sub_f16_e32 v25, v15, v13
	v_add_f16_e32 v28, v9, v15
	v_add_f16_e32 v32, v33, v45
	v_sub_f16_e32 v36, v45, v49
	v_sub_f16_e32 v37, v57, v53
	v_add_f16_e32 v41, v27, v10
	v_add_f16_e32 v42, v12, v14
	;; [unrolled: 1-line block ×5, first 2 shown]
	v_sub_f16_e32 v29, v11, v9
	v_sub_f16_e32 v31, v13, v15
	;; [unrolled: 1-line block ×8, first 2 shown]
	v_add_f16_e32 v56, v43, v47
	v_sub_f16_e32 v10, v10, v16
	v_sub_f16_e32 v60, v12, v14
	;; [unrolled: 1-line block ×5, first 2 shown]
	v_add_f16_e32 v11, v17, v11
	v_fma_f16 v65, -0.5, v18, v26
	v_add_f16_e32 v17, v24, v25
	v_fmac_f16_e32 v26, -0.5, v28
	v_add_f16_e32 v24, v32, v49
	v_add_f16_e32 v28, v36, v37
	;; [unrolled: 1-line block ×3, first 2 shown]
	v_fma_f16 v32, -0.5, v42, v27
	v_fma_f16 v37, -0.5, v58, v43
	v_sub_f16_e32 v19, v45, v57
	v_add_f16_e32 v38, v45, v57
	v_sub_f16_e32 v45, v51, v55
	v_sub_f16_e32 v48, v16, v14
	v_fmac_f16_e32 v27, -0.5, v50
	v_fmac_f16_e32 v43, -0.5, v63
	v_add_f16_e32 v34, v49, v53
	v_sub_f16_e32 v54, v14, v16
	v_sub_f16_e32 v62, v59, v55
	v_add_f16_e32 v18, v29, v31
	v_add_f16_e32 v29, v39, v40
	;; [unrolled: 1-line block ×5, first 2 shown]
	v_fmamk_f16 v14, v44, 0x3b9c, v32
	v_fmamk_f16 v47, v10, 0xbb9c, v37
	v_add_f16_e32 v31, v46, v48
	v_fmamk_f16 v46, v45, 0xbb9c, v27
	v_fmac_f16_e32 v27, 0x3b9c, v45
	v_fmamk_f16 v48, v60, 0x3b9c, v43
	v_fmac_f16_e32 v43, 0xbb9c, v60
	v_sub_f16_e32 v20, v49, v53
	v_fmac_f16_e32 v32, 0xbb9c, v44
	v_fmac_f16_e32 v37, 0x3b9c, v10
	v_sub_f16_e32 v9, v9, v15
	v_fma_f16 v25, -0.5, v34, v33
	v_fmac_f16_e32 v33, -0.5, v38
	v_add_f16_e32 v38, v61, v62
	v_add_f16_e32 v11, v11, v13
	;; [unrolled: 1-line block ×4, first 2 shown]
	v_fmac_f16_e32 v14, 0x38b4, v45
	v_fmac_f16_e32 v47, 0xb8b4, v60
	v_add_f16_e32 v34, v52, v54
	v_fmamk_f16 v13, v19, 0x3b9c, v65
	v_fmac_f16_e32 v65, 0xbb9c, v19
	v_fmac_f16_e32 v46, 0x38b4, v44
	;; [unrolled: 1-line block ×5, first 2 shown]
	v_fmamk_f16 v40, v20, 0xbb9c, v26
	v_fmac_f16_e32 v26, 0x3b9c, v20
	v_fmac_f16_e32 v32, 0xb8b4, v45
	;; [unrolled: 1-line block ×3, first 2 shown]
	v_fmamk_f16 v41, v9, 0xbb9c, v25
	v_add_f16_e32 v11, v11, v15
	v_add_f16_e32 v15, v24, v57
	;; [unrolled: 1-line block ×4, first 2 shown]
	v_fmac_f16_e32 v14, 0x34f2, v31
	v_fmac_f16_e32 v47, 0x34f2, v38
	v_fmamk_f16 v42, v35, 0x3b9c, v33
	v_fmac_f16_e32 v33, 0xbb9c, v35
	v_fmac_f16_e32 v13, 0x38b4, v20
	;; [unrolled: 1-line block ×13, first 2 shown]
	v_add_f16_e32 v19, v15, v16
	v_sub_f16_e32 v31, v15, v16
	v_mul_f16_e32 v15, 0x38b4, v47
	v_mul_f16_e32 v20, 0xb8b4, v14
	v_fmac_f16_e32 v42, 0xb8b4, v9
	v_fmac_f16_e32 v33, 0x38b4, v9
	;; [unrolled: 1-line block ×4, first 2 shown]
	v_mul_f16_e32 v16, 0x3b9c, v48
	v_mul_f16_e32 v10, 0x34f2, v27
	;; [unrolled: 1-line block ×4, first 2 shown]
	v_fmac_f16_e32 v25, 0x38b4, v35
	v_fmac_f16_e32 v40, 0x34f2, v18
	;; [unrolled: 1-line block ×3, first 2 shown]
	v_add_f16_e32 v9, v11, v12
	v_sub_f16_e32 v12, v11, v12
	v_mul_f16_e32 v11, 0x3a79, v32
	v_mul_f16_e32 v18, 0x3a79, v37
	v_fmac_f16_e32 v41, 0x34f2, v28
	v_fmac_f16_e32 v15, 0x3a79, v14
	v_fmac_f16_e32 v20, 0x3a79, v47
	v_fmac_f16_e32 v42, 0x34f2, v29
	v_fmac_f16_e32 v33, 0x34f2, v29
	v_fmac_f16_e32 v16, 0x34f2, v46
	v_fma_f16 v34, v43, 0x3b9c, -v10
	v_fmac_f16_e32 v24, 0x34f2, v48
	v_fma_f16 v27, v27, 0xbb9c, -v17
	v_fmac_f16_e32 v25, 0x34f2, v28
	v_fma_f16 v38, v37, 0x38b4, -v11
	v_fma_f16 v32, v32, 0xb8b4, -v18
	v_add_f16_e32 v10, v13, v15
	v_add_f16_e32 v29, v41, v20
	v_add_f16_e32 v17, v40, v16
	v_add_f16_e32 v18, v26, v34
	v_add_f16_e32 v37, v42, v24
	v_add_f16_e32 v36, v33, v27
	v_add_f16_e32 v11, v65, v38
	v_add_f16_e32 v35, v25, v32
	v_sub_f16_e32 v13, v13, v15
	v_sub_f16_e32 v14, v40, v16
	;; [unrolled: 1-line block ×8, first 2 shown]
	v_pack_b32_f16 v28, v9, v19
	v_pack_b32_f16 v20, v10, v29
	;; [unrolled: 1-line block ×10, first 2 shown]
	ds_write2_b32 v30, v28, v20 offset1:13
	ds_write2_b32 v30, v24, v25 offset0:26 offset1:39
	ds_write2_b32 v30, v26, v44 offset0:52 offset1:65
	;; [unrolled: 1-line block ×4, first 2 shown]
	s_waitcnt lgkmcnt(0)
	s_barrier
	buffer_gl0_inv
	s_and_saveexec_b32 s1, s0
	s_cbranch_execz .LBB0_17
; %bb.16:
	v_add_nc_u32_e32 v7, 0x1000, v0
	v_add_nc_u32_e32 v8, 0x1400, v0
	;; [unrolled: 1-line block ×5, first 2 shown]
	ds_read2_b32 v[9:10], v0 offset1:130
	ds_read_b32 v4, v0 offset:6240
	ds_read2_b32 v[15:16], v7 offset0:16 offset1:146
	ds_read2_b32 v[7:8], v8 offset0:20 offset1:150
	;; [unrolled: 1-line block ×5, first 2 shown]
	s_waitcnt lgkmcnt(6)
	v_lshrrev_b32_e32 v19, 16, v9
	s_waitcnt lgkmcnt(5)
	v_lshrrev_b32_e32 v22, 16, v4
	v_lshrrev_b32_e32 v29, 16, v10
	s_waitcnt lgkmcnt(4)
	v_lshrrev_b32_e32 v33, 16, v15
	;; [unrolled: 3-line block ×6, first 2 shown]
	v_lshrrev_b32_e32 v39, 16, v14
.LBB0_17:
	s_or_b32 exec_lo, exec_lo, s1
	s_barrier
	buffer_gl0_inv
	s_and_saveexec_b32 s1, s0
	s_cbranch_execz .LBB0_19
; %bb.18:
	v_add_nc_u32_e32 v20, 0xffffff7e, v3
	v_mov_b32_e32 v25, 0
	v_cndmask_b32_e64 v20, v20, v3, s0
	v_mul_i32_i24_e32 v24, 12, v20
	v_lshlrev_b64 v[24:25], 2, v[24:25]
	v_add_co_u32 v24, s0, s12, v24
	v_add_co_ci_u32_e64 v25, s0, s13, v25, s0
	s_clause 0x2
	global_load_dwordx4 v[40:43], v[24:25], off offset:468
	global_load_dwordx4 v[44:47], v[24:25], off offset:500
	;; [unrolled: 1-line block ×3, first 2 shown]
	s_waitcnt vmcnt(2)
	v_mul_f16_sdwa v53, v10, v40 dst_sel:DWORD dst_unused:UNUSED_PAD src0_sel:DWORD src1_sel:WORD_1
	s_waitcnt vmcnt(1)
	v_mul_f16_sdwa v20, v4, v47 dst_sel:DWORD dst_unused:UNUSED_PAD src0_sel:DWORD src1_sel:WORD_1
	v_mul_f16_sdwa v27, v29, v40 dst_sel:DWORD dst_unused:UNUSED_PAD src0_sel:DWORD src1_sel:WORD_1
	;; [unrolled: 1-line block ×8, first 2 shown]
	v_fmac_f16_e32 v20, v22, v47
	v_fmac_f16_e32 v53, v29, v40
	v_mul_f16_sdwa v54, v37, v41 dst_sel:DWORD dst_unused:UNUSED_PAD src0_sel:DWORD src1_sel:WORD_1
	v_mul_f16_sdwa v55, v23, v46 dst_sel:DWORD dst_unused:UNUSED_PAD src0_sel:DWORD src1_sel:WORD_1
	s_waitcnt vmcnt(0)
	v_mul_f16_sdwa v64, v33, v51 dst_sel:DWORD dst_unused:UNUSED_PAD src0_sel:DWORD src1_sel:WORD_1
	v_mul_f16_sdwa v28, v15, v51 dst_sel:DWORD dst_unused:UNUSED_PAD src0_sel:DWORD src1_sel:WORD_1
	;; [unrolled: 1-line block ×6, first 2 shown]
	v_fma_f16 v68, v10, v40, -v27
	v_fma_f16 v27, v4, v47, -v52
	v_mul_f16_sdwa v58, v21, v45 dst_sel:DWORD dst_unused:UNUSED_PAD src0_sel:DWORD src1_sel:WORD_1
	v_mul_f16_sdwa v60, v35, v43 dst_sel:DWORD dst_unused:UNUSED_PAD src0_sel:DWORD src1_sel:WORD_1
	v_fmac_f16_e32 v24, v23, v46
	v_fmac_f16_e32 v56, v37, v41
	;; [unrolled: 1-line block ×3, first 2 shown]
	v_fma_f16 v21, v16, v44, -v61
	v_fmac_f16_e32 v26, v34, v44
	v_sub_f16_e32 v44, v53, v20
	v_mul_f16_sdwa v57, v36, v42 dst_sel:DWORD dst_unused:UNUSED_PAD src0_sel:DWORD src1_sel:WORD_1
	v_mul_f16_sdwa v59, v18, v42 dst_sel:DWORD dst_unused:UNUSED_PAD src0_sel:DWORD src1_sel:WORD_1
	;; [unrolled: 1-line block ×4, first 2 shown]
	v_fma_f16 v40, v17, v41, -v54
	v_fma_f16 v22, v8, v46, -v55
	;; [unrolled: 1-line block ×3, first 2 shown]
	v_fmac_f16_e32 v28, v33, v51
	v_fmac_f16_e32 v65, v31, v48
	v_fma_f16 v31, v14, v50, -v67
	v_fmac_f16_e32 v30, v39, v50
	v_fmac_f16_e32 v32, v38, v49
	v_sub_f16_e32 v38, v68, v27
	v_add_f16_e32 v50, v9, v68
	v_add_f16_e32 v51, v19, v53
	v_fma_f16 v23, v7, v45, -v58
	v_fma_f16 v41, v11, v43, -v60
	v_add_f16_e32 v17, v68, v27
	v_sub_f16_e32 v45, v56, v24
	v_mul_f16_e32 v60, 0xb3a8, v44
	v_mul_f16_sdwa v62, v11, v43 dst_sel:DWORD dst_unused:UNUSED_PAD src0_sel:DWORD src1_sel:WORD_1
	v_fma_f16 v37, v18, v42, -v57
	v_fmac_f16_e32 v59, v36, v42
	v_add_f16_e32 v18, v53, v20
	v_sub_f16_e32 v39, v40, v22
	v_add_f16_e32 v16, v40, v22
	v_mul_f16_e32 v52, 0xb3a8, v38
	v_add_f16_e32 v40, v50, v40
	v_add_f16_e32 v50, v51, v56
	v_mul_f16_e32 v61, 0x3770, v45
	v_mul_f16_e32 v68, 0xb94e, v38
	v_fma_f16 v101, v17, 0xbbc4, -v60
	v_fmac_f16_e32 v62, v35, v43
	v_add_f16_e32 v11, v56, v24
	v_mul_f16_e32 v53, 0x3770, v39
	v_mul_f16_e32 v95, 0xbbf1, v44
	v_fmamk_f16 v51, v18, 0xbbc4, v52
	v_add_f16_e32 v50, v50, v59
	v_mul_f16_e32 v69, 0x3bf1, v39
	v_mul_f16_e32 v97, 0xba95, v38
	v_fma_f16 v102, v16, 0x3b15, -v61
	v_fmamk_f16 v103, v18, 0xb9fd, v68
	v_add_f16_e32 v101, v9, v101
	v_sub_f16_e32 v43, v37, v23
	v_add_f16_e32 v8, v62, v26
	v_add_f16_e32 v15, v37, v23
	v_sub_f16_e32 v46, v59, v25
	v_sub_f16_e32 v47, v62, v26
	v_mul_f16_e32 v74, 0xb94e, v44
	v_mul_f16_e32 v80, 0xbb7b, v38
	;; [unrolled: 1-line block ×5, first 2 shown]
	v_fmamk_f16 v56, v11, 0x3b15, v53
	v_add_f16_e32 v37, v40, v37
	v_add_f16_e32 v51, v19, v51
	;; [unrolled: 1-line block ×3, first 2 shown]
	v_fma_f16 v62, v17, 0x2fb7, -v95
	v_fmac_f16_e32 v95, 0x2fb7, v17
	v_mul_f16_e32 v98, 0xbb7b, v39
	v_fmamk_f16 v104, v11, 0x2fb7, v69
	v_add_f16_e32 v103, v19, v103
	v_add_f16_e32 v101, v102, v101
	v_fmamk_f16 v102, v18, 0x388b, v97
	v_fma_f16 v97, v18, 0x388b, -v97
	v_fma_f16 v42, v12, v48, -v63
	v_add_f16_e32 v10, v59, v25
	v_mul_f16_e32 v63, 0xb94e, v46
	v_mul_f16_e32 v75, 0x3bf1, v45
	;; [unrolled: 1-line block ×5, first 2 shown]
	v_fma_f16 v105, v17, 0xb9fd, -v74
	v_fmamk_f16 v107, v18, 0xb5ac, v80
	v_fma_f16 v40, v17, 0xb5ac, -v86
	v_fmamk_f16 v59, v18, 0x2fb7, v92
	v_add_f16_e32 v37, v37, v41
	v_add_f16_e32 v51, v56, v51
	v_fma_f16 v56, v16, 0xbbc4, -v96
	v_fma_f16 v92, v18, 0x2fb7, -v92
	v_fmac_f16_e32 v96, 0xbbc4, v16
	v_add_f16_e32 v95, v9, v95
	v_mul_f16_e32 v70, 0xba95, v43
	v_add_f16_e32 v103, v104, v103
	v_fmamk_f16 v104, v11, 0xb5ac, v98
	v_fma_f16 v68, v18, 0xb9fd, -v68
	v_fmac_f16_e32 v86, 0xb5ac, v17
	v_fma_f16 v98, v11, 0xb5ac, -v98
	v_add_f16_e32 v97, v19, v97
	v_fma_f16 v33, v13, v49, -v66
	v_sub_f16_e32 v34, v41, v21
	v_add_f16_e32 v14, v41, v21
	v_mul_f16_e32 v54, 0xb94e, v43
	v_mul_f16_e32 v82, 0x3770, v43
	;; [unrolled: 1-line block ×4, first 2 shown]
	v_fma_f16 v106, v16, 0x2fb7, -v75
	v_fmamk_f16 v108, v11, 0xb9fd, v81
	v_fma_f16 v109, v16, 0xb9fd, -v87
	v_fmamk_f16 v41, v11, 0xbbc4, v93
	v_add_f16_e32 v105, v9, v105
	v_add_f16_e32 v107, v19, v107
	v_add_f16_e32 v40, v9, v40
	v_add_f16_e32 v37, v37, v42
	v_add_f16_e32 v50, v50, v65
	v_fma_f16 v93, v11, 0xbbc4, -v93
	v_add_f16_e32 v92, v19, v92
	v_add_f16_e32 v95, v96, v95
	v_fma_f16 v96, v15, 0xb9fd, -v63
	v_mul_f16_e32 v88, 0x3770, v46
	v_fma_f16 v69, v11, 0x2fb7, -v69
	v_add_f16_e32 v68, v19, v68
	v_fmac_f16_e32 v87, 0xb9fd, v16
	v_add_f16_e32 v86, v9, v86
	v_add_f16_e32 v97, v98, v97
	v_fmamk_f16 v98, v10, 0x388b, v70
	v_sub_f16_e32 v35, v42, v29
	v_sub_f16_e32 v36, v33, v31
	v_add_f16_e32 v4, v32, v30
	v_add_f16_e32 v13, v42, v29
	;; [unrolled: 1-line block ×3, first 2 shown]
	v_sub_f16_e32 v49, v32, v30
	v_mul_f16_e32 v55, 0x3a95, v34
	v_mul_f16_e32 v76, 0xba95, v46
	;; [unrolled: 1-line block ×4, first 2 shown]
	v_add_f16_e32 v105, v106, v105
	v_fma_f16 v106, v17, 0x388b, -v99
	v_add_f16_e32 v59, v19, v59
	v_add_f16_e32 v107, v108, v107
	;; [unrolled: 1-line block ×4, first 2 shown]
	v_fmamk_f16 v109, v18, 0x3b15, v38
	v_mul_f16_e32 v42, 0x3b7b, v46
	v_fma_f16 v52, v18, 0xbbc4, -v52
	v_add_f16_e32 v92, v93, v92
	v_fmamk_f16 v93, v10, 0xb9fd, v54
	v_add_f16_e32 v96, v96, v101
	v_fmamk_f16 v101, v10, 0x3b15, v82
	v_add_f16_e32 v33, v37, v33
	v_add_f16_e32 v32, v50, v32
	v_mul_f16_e32 v64, 0x3a95, v47
	v_mul_f16_e32 v71, 0x33a8, v34
	;; [unrolled: 1-line block ×3, first 2 shown]
	v_fmac_f16_e32 v74, 0xb9fd, v17
	v_add_f16_e32 v68, v69, v68
	v_add_f16_e32 v86, v87, v86
	v_add_f16_e32 v98, v98, v103
	v_fma_f16 v103, v15, 0x3b15, -v88
	v_fma_f16 v70, v10, 0x388b, -v70
	v_fmac_f16_e32 v88, 0x3b15, v15
	v_mul_f16_e32 v77, 0x33a8, v47
	v_mul_f16_e32 v94, 0x3b7b, v43
	v_fma_f16 v108, v16, 0xb5ac, -v100
	v_add_f16_e32 v41, v41, v59
	v_fmamk_f16 v59, v11, 0x388b, v39
	v_add_f16_e32 v56, v56, v62
	v_add_f16_e32 v106, v9, v106
	;; [unrolled: 1-line block ×3, first 2 shown]
	v_fma_f16 v53, v11, 0x3b15, -v53
	v_add_f16_e32 v52, v19, v52
	v_mul_f16_e32 v69, 0xb3a8, v43
	v_fma_f16 v80, v18, 0xb5ac, -v80
	v_mul_f16_e32 v43, 0xbbf1, v43
	v_add_f16_e32 v51, v93, v51
	v_fma_f16 v93, v15, 0x388b, -v76
	v_add_f16_e32 v101, v101, v107
	v_fma_f16 v107, v15, 0xb5ac, -v42
	v_fmamk_f16 v50, v8, 0x388b, v55
	v_add_f16_e32 v31, v33, v31
	v_add_f16_e32 v30, v32, v30
	v_mul_f16_e32 v83, 0xbbf1, v34
	v_mul_f16_e32 v89, 0xbbf1, v47
	;; [unrolled: 1-line block ×3, first 2 shown]
	v_add_f16_e32 v102, v19, v102
	v_fma_f16 v62, v17, 0x3b15, -v44
	v_fmac_f16_e32 v75, 0x2fb7, v16
	v_add_f16_e32 v74, v9, v74
	v_add_f16_e32 v68, v70, v68
	v_fma_f16 v70, v14, 0x388b, -v64
	v_add_f16_e32 v86, v88, v86
	v_fmamk_f16 v88, v8, 0xbbc4, v71
	v_add_f16_e32 v7, v65, v28
	v_sub_f16_e32 v48, v65, v28
	v_add_f16_e32 v106, v108, v106
	v_mul_f16_e32 v108, 0x3770, v34
	v_add_f16_e32 v59, v59, v109
	v_fmac_f16_e32 v60, 0xbbc4, v17
	v_add_f16_e32 v52, v53, v52
	v_fma_f16 v81, v11, 0xb9fd, -v81
	v_add_f16_e32 v80, v19, v80
	v_mul_f16_e32 v87, 0xb3a8, v46
	v_add_f16_e32 v93, v93, v105
	v_fmamk_f16 v105, v10, 0xb5ac, v94
	v_add_f16_e32 v56, v107, v56
	v_fmamk_f16 v107, v10, 0x2fb7, v43
	v_fma_f16 v54, v10, 0xb9fd, -v54
	v_add_f16_e32 v50, v50, v51
	v_fma_f16 v51, v14, 0xbbc4, -v77
	v_add_f16_e32 v29, v31, v29
	v_add_f16_e32 v28, v30, v28
	;; [unrolled: 1-line block ×3, first 2 shown]
	v_fma_f16 v104, v16, 0x388b, -v45
	v_add_f16_e32 v62, v9, v62
	v_mul_f16_e32 v65, 0x3770, v47
	v_add_f16_e32 v74, v75, v74
	v_mul_f16_e32 v75, 0x394e, v34
	v_mul_f16_e32 v46, 0xbbf1, v46
	v_add_f16_e32 v40, v103, v40
	v_fmamk_f16 v103, v10, 0xbbc4, v69
	v_add_f16_e32 v70, v70, v96
	v_fmamk_f16 v96, v8, 0x2fb7, v83
	v_add_f16_e32 v88, v88, v98
	v_fma_f16 v98, v14, 0x2fb7, -v89
	v_mul_f16_e32 v57, 0xbb7b, v35
	v_mul_f16_e32 v72, 0x3770, v35
	v_fmac_f16_e32 v61, 0x3b15, v16
	v_add_f16_e32 v60, v9, v60
	v_add_f16_e32 v80, v81, v80
	;; [unrolled: 1-line block ×3, first 2 shown]
	v_fma_f16 v105, v15, 0xbbc4, -v87
	v_add_f16_e32 v59, v107, v59
	v_mul_f16_e32 v107, 0x394e, v47
	v_add_f16_e32 v52, v54, v52
	v_fma_f16 v82, v10, 0x3b15, -v82
	v_fma_f16 v94, v10, 0xb5ac, -v94
	v_add_f16_e32 v51, v51, v93
	v_fmamk_f16 v93, v8, 0x3b15, v108
	v_fma_f16 v55, v8, 0x388b, -v55
	v_fma_f16 v71, v8, 0xbbc4, -v71
	v_add_f16_e32 v21, v29, v21
	v_add_f16_e32 v26, v28, v26
	v_fmac_f16_e32 v99, 0x388b, v17
	v_fma_f16 v18, v18, 0x3b15, -v38
	v_fmac_f16_e32 v44, 0x3b15, v17
	v_mul_f16_e32 v84, 0x33a8, v35
	v_mul_f16_e32 v109, 0xba95, v35
	v_add_f16_e32 v62, v104, v62
	v_add_f16_e32 v102, v103, v102
	v_fma_f16 v103, v15, 0x2fb7, -v46
	v_mul_f16_e32 v34, 0xbb7b, v34
	v_mul_f16_e32 v47, 0xbb7b, v47
	v_add_f16_e32 v96, v96, v101
	v_fma_f16 v101, v14, 0x3b15, -v65
	v_add_f16_e32 v40, v98, v40
	v_fmamk_f16 v98, v8, 0xb9fd, v75
	v_mul_f16_e32 v58, 0x3bf1, v36
	v_mul_f16_e32 v73, 0xbb7b, v36
	v_mul_f16_e32 v90, 0x33a8, v48
	v_mul_f16_e32 v53, 0xba95, v48
	v_add_f16_e32 v60, v61, v60
	v_add_f16_e32 v105, v105, v106
	v_fmac_f16_e32 v63, 0xb9fd, v15
	v_fmamk_f16 v54, v7, 0xb5ac, v57
	v_fmac_f16_e32 v76, 0x388b, v15
	v_add_f16_e32 v80, v82, v80
	v_add_f16_e32 v92, v94, v92
	v_fmamk_f16 v94, v7, 0x3b15, v72
	v_add_f16_e32 v41, v93, v41
	v_fma_f16 v93, v14, 0xb9fd, -v107
	v_add_f16_e32 v52, v55, v52
	v_fma_f16 v83, v8, 0x2fb7, -v83
	;; [unrolled: 2-line block ×3, first 2 shown]
	v_fma_f16 v72, v7, 0x3b15, -v72
	v_add_f16_e32 v21, v21, v23
	v_add_f16_e32 v23, v26, v25
	;; [unrolled: 1-line block ×3, first 2 shown]
	v_fmac_f16_e32 v100, 0xb5ac, v16
	v_add_f16_e32 v18, v19, v18
	v_fma_f16 v11, v11, 0x388b, -v39
	v_add_f16_e32 v9, v9, v44
	v_fmac_f16_e32 v45, 0x388b, v16
	v_mul_f16_e32 v66, 0xbb7b, v48
	v_mul_f16_e32 v78, 0x3770, v48
	;; [unrolled: 1-line block ×3, first 2 shown]
	v_add_f16_e32 v62, v103, v62
	v_mul_f16_e32 v103, 0x3bf1, v48
	v_mul_f16_e32 v35, 0xb94e, v35
	;; [unrolled: 1-line block ×3, first 2 shown]
	v_add_f16_e32 v56, v101, v56
	v_fmamk_f16 v101, v8, 0xb5ac, v34
	v_add_f16_e32 v98, v98, v102
	v_fma_f16 v102, v14, 0xb5ac, -v47
	v_fmamk_f16 v33, v7, 0xbbc4, v84
	v_fmamk_f16 v71, v7, 0x388b, v109
	v_mul_f16_e32 v85, 0x3a95, v36
	v_mul_f16_e32 v91, 0x3a95, v49
	;; [unrolled: 1-line block ×4, first 2 shown]
	v_add_f16_e32 v60, v63, v60
	v_fmamk_f16 v63, v4, 0x2fb7, v58
	v_add_f16_e32 v74, v76, v74
	v_add_f16_e32 v93, v93, v105
	v_fmamk_f16 v105, v4, 0xb5ac, v73
	v_fmac_f16_e32 v64, 0x388b, v14
	v_fma_f16 v55, v13, 0xbbc4, -v90
	v_fmac_f16_e32 v77, 0xbbc4, v14
	v_fmac_f16_e32 v89, 0x2fb7, v14
	v_add_f16_e32 v80, v83, v80
	v_fma_f16 v83, v13, 0x388b, -v53
	v_fma_f16 v58, v4, 0x2fb7, -v58
	;; [unrolled: 1-line block ×3, first 2 shown]
	v_fmac_f16_e32 v42, 0xb5ac, v15
	v_fma_f16 v69, v10, 0xbbc4, -v69
	v_add_f16_e32 v30, v57, v52
	v_add_f16_e32 v52, v72, v68
	v_add_f16_e32 v21, v21, v22
	v_add_f16_e32 v22, v23, v24
	v_add_f16_e32 v16, v100, v17
	v_fmac_f16_e32 v87, 0xbbc4, v15
	v_add_f16_e32 v11, v11, v18
	v_fma_f16 v10, v10, 0x2fb7, -v43
	v_add_f16_e32 v9, v45, v9
	v_fmac_f16_e32 v46, 0x2fb7, v15
	v_mul_f16_e32 v67, 0x3bf1, v49
	v_mul_f16_e32 v79, 0xbb7b, v49
	;; [unrolled: 1-line block ×6, first 2 shown]
	v_add_f16_e32 v59, v101, v59
	v_add_f16_e32 v62, v102, v62
	;; [unrolled: 1-line block ×3, first 2 shown]
	v_fmamk_f16 v96, v7, 0xb9fd, v35
	v_add_f16_e32 v41, v71, v41
	v_fma_f16 v71, v13, 0xb9fd, -v48
	v_fma_f16 v76, v13, 0xb5ac, -v66
	;; [unrolled: 1-line block ×3, first 2 shown]
	v_add_f16_e32 v50, v54, v50
	v_fmamk_f16 v54, v7, 0x2fb7, v81
	v_add_f16_e32 v88, v94, v88
	v_fma_f16 v94, v13, 0x2fb7, -v103
	v_fmamk_f16 v32, v4, 0x388b, v85
	v_add_f16_e32 v60, v64, v60
	v_fma_f16 v64, v12, 0x388b, -v91
	v_add_f16_e32 v74, v77, v74
	v_fmamk_f16 v77, v4, 0xb9fd, v104
	v_add_f16_e32 v86, v89, v86
	v_fma_f16 v89, v12, 0xb9fd, -v61
	v_add_f16_e32 v40, v55, v40
	v_add_f16_e32 v56, v83, v56
	;; [unrolled: 1-line block ×6, first 2 shown]
	v_fma_f16 v22, v8, 0x3b15, -v108
	v_add_f16_e32 v27, v42, v95
	v_fmac_f16_e32 v65, 0x3b15, v14
	v_add_f16_e32 v42, v69, v97
	v_fma_f16 v52, v8, 0xb9fd, -v75
	v_add_f16_e32 v15, v87, v16
	v_fmac_f16_e32 v107, 0xb9fd, v14
	v_add_f16_e32 v10, v10, v11
	v_fma_f16 v8, v8, 0xb5ac, -v34
	v_add_f16_e32 v9, v46, v9
	v_fmac_f16_e32 v47, 0xb5ac, v14
	v_fmamk_f16 v55, v4, 0xbbc4, v36
	v_fma_f16 v83, v12, 0xbbc4, -v49
	v_add_f16_e32 v59, v96, v59
	v_add_f16_e32 v62, v71, v62
	;; [unrolled: 1-line block ×3, first 2 shown]
	v_fmamk_f16 v76, v4, 0x3b15, v106
	v_add_f16_e32 v51, v101, v51
	v_fma_f16 v101, v12, 0x3b15, -v37
	v_fmac_f16_e32 v66, 0xb5ac, v13
	v_add_f16_e32 v54, v54, v98
	v_add_f16_e32 v93, v94, v93
	v_fmac_f16_e32 v78, 0x3b15, v13
	v_fma_f16 v84, v7, 0xbbc4, -v84
	v_fmac_f16_e32 v90, 0xbbc4, v13
	v_add_f16_e32 v32, v32, v33
	v_add_f16_e32 v33, v64, v40
	;; [unrolled: 1-line block ×5, first 2 shown]
	v_fma_f16 v56, v7, 0x388b, -v109
	v_add_f16_e32 v27, v65, v27
	v_fmac_f16_e32 v53, 0x388b, v13
	v_add_f16_e32 v42, v52, v42
	v_fma_f16 v52, v7, 0x2fb7, -v81
	v_add_f16_e32 v11, v107, v15
	v_fmac_f16_e32 v103, 0x2fb7, v13
	v_add_f16_e32 v8, v8, v10
	v_fma_f16 v7, v7, 0xb9fd, -v35
	v_add_f16_e32 v9, v47, v9
	v_fmac_f16_e32 v48, 0xb9fd, v13
	v_fma_f16 v102, v12, 0xb5ac, -v79
	v_add_f16_e32 v29, v55, v59
	v_add_f16_e32 v55, v83, v62
	v_fma_f16 v82, v12, 0x2fb7, -v67
	v_fmac_f16_e32 v67, 0x2fb7, v12
	v_add_f16_e32 v31, v66, v60
	v_add_f16_e32 v54, v76, v54
	v_add_f16_e32 v28, v101, v93
	v_fmac_f16_e32 v79, 0xb5ac, v12
	v_fma_f16 v85, v4, 0x388b, -v85
	v_fmac_f16_e32 v91, 0x388b, v12
	v_add_f16_e32 v57, v78, v74
	v_add_f16_e32 v60, v84, v80
	;; [unrolled: 1-line block ×4, first 2 shown]
	v_fma_f16 v56, v4, 0xb9fd, -v104
	v_add_f16_e32 v27, v53, v27
	v_fmac_f16_e32 v61, 0xb9fd, v12
	v_add_f16_e32 v42, v52, v42
	v_fma_f16 v52, v4, 0x3b15, -v106
	v_add_f16_e32 v10, v103, v11
	v_fmac_f16_e32 v37, 0x3b15, v12
	v_add_f16_e32 v7, v7, v8
	;; [unrolled: 4-line block ×3, first 2 shown]
	v_add_f16_e32 v51, v102, v51
	v_pack_b32_f16 v9, v21, v20
	v_pack_b32_f16 v11, v55, v29
	v_add_f16_e32 v50, v63, v50
	v_add_f16_e32 v63, v82, v70
	;; [unrolled: 1-line block ×3, first 2 shown]
	v_pack_b32_f16 v12, v28, v54
	v_pack_b32_f16 v13, v41, v40
	v_add_nc_u32_e32 v14, 0x400, v0
	v_add_f16_e32 v23, v79, v57
	v_add_f16_e32 v24, v85, v60
	;; [unrolled: 1-line block ×9, first 2 shown]
	ds_write2_b32 v0, v9, v11 offset1:130
	ds_write2_b32 v14, v12, v13 offset0:4 offset1:134
	v_pack_b32_f16 v8, v33, v32
	v_pack_b32_f16 v9, v51, v68
	v_add_nc_u32_e32 v11, 0x800, v0
	v_pack_b32_f16 v12, v63, v50
	v_pack_b32_f16 v13, v26, v25
	v_add_nc_u32_e32 v14, 0xc00, v0
	;; [unrolled: 3-line block ×4, first 2 shown]
	v_pack_b32_f16 v4, v7, v4
	ds_write2_b32 v11, v8, v9 offset0:8 offset1:138
	ds_write2_b32 v14, v12, v13 offset0:12 offset1:142
	;; [unrolled: 1-line block ×4, first 2 shown]
	ds_write_b32 v0, v4 offset:6240
.LBB0_19:
	s_or_b32 exec_lo, exec_lo, s1
	s_waitcnt lgkmcnt(0)
	s_barrier
	buffer_gl0_inv
	ds_read_b32 v13, v0
	v_lshlrev_b32_e32 v4, 2, v3
	s_add_u32 s1, s12, 0x1a34
	s_addc_u32 s4, s13, 0
	s_mov_b32 s5, exec_lo
                                        ; implicit-def: $vgpr12
                                        ; implicit-def: $vgpr11
                                        ; implicit-def: $vgpr10
                                        ; implicit-def: $vgpr7_vgpr8
	v_sub_nc_u32_e32 v9, 0, v4
	v_cmpx_ne_u32_e32 0, v3
	s_xor_b32 s5, exec_lo, s5
	s_cbranch_execz .LBB0_21
; %bb.20:
	v_mov_b32_e32 v4, 0
	v_lshlrev_b64 v[7:8], 2, v[3:4]
	v_add_co_u32 v7, s0, s1, v7
	v_add_co_ci_u32_e64 v8, s0, s4, v8, s0
	global_load_dword v7, v[7:8], off
	ds_read_b32 v8, v9 offset:6760
	s_waitcnt lgkmcnt(0)
	v_pk_add_f16 v10, v13, v8 neg_lo:[0,1] neg_hi:[0,1]
	v_pk_add_f16 v8, v8, v13
                                        ; implicit-def: $vgpr13
	v_bfi_b32 v11, 0xffff, v10, v8
	v_bfi_b32 v8, 0xffff, v8, v10
	v_pk_mul_f16 v11, v11, 0.5 op_sel_hi:[1,0]
	v_pk_mul_f16 v12, v8, 0.5 op_sel_hi:[1,0]
	s_waitcnt vmcnt(0)
	v_pk_mul_f16 v10, v7, v11 op_sel:[1,0]
	v_pk_mul_f16 v7, v7, v11 op_sel_hi:[0,1]
	v_pk_fma_f16 v8, v8, 0.5, v10 op_sel_hi:[1,0,1]
	v_sub_f16_e32 v11, v12, v10
	v_sub_f16_sdwa v10, v10, v12 dst_sel:DWORD dst_unused:UNUSED_PAD src0_sel:WORD_1 src1_sel:WORD_1
	v_pk_add_f16 v12, v8, v7 op_sel:[0,1] op_sel_hi:[1,0]
	v_pk_add_f16 v8, v8, v7 op_sel:[0,1] op_sel_hi:[1,0] neg_lo:[0,1] neg_hi:[0,1]
	v_sub_f16_sdwa v11, v11, v7 dst_sel:DWORD dst_unused:UNUSED_PAD src0_sel:DWORD src1_sel:WORD_1
	v_sub_f16_e32 v10, v10, v7
	v_bfi_b32 v12, 0xffff, v12, v8
	v_mov_b32_e32 v8, v4
	v_mov_b32_e32 v7, v3
.LBB0_21:
	s_andn2_saveexec_b32 s0, s5
	s_cbranch_execz .LBB0_23
; %bb.22:
	v_mov_b32_e32 v10, 0
	s_waitcnt lgkmcnt(0)
	v_alignbit_b32 v7, s0, v13, 16
	v_sub_f16_sdwa v11, v13, v13 dst_sel:DWORD dst_unused:UNUSED_PAD src0_sel:DWORD src1_sel:WORD_1
	ds_read_u16 v4, v10 offset:3382
	v_pk_add_f16 v12, v7, v13
	v_mov_b32_e32 v7, 0
	v_mov_b32_e32 v8, 0
	v_pack_b32_f16 v12, v12, 0
	s_waitcnt lgkmcnt(0)
	v_xor_b32_e32 v4, 0x8000, v4
	ds_write_b16 v10, v4 offset:3382
.LBB0_23:
	s_or_b32 exec_lo, exec_lo, s0
	v_lshlrev_b64 v[7:8], 2, v[7:8]
	v_add_co_u32 v7, s0, s1, v7
	v_add_co_ci_u32_e64 v8, s0, s4, v8, s0
	global_load_dword v4, v[7:8], off offset:676
	s_waitcnt lgkmcnt(0)
	s_clause 0x1
	global_load_dword v13, v[7:8], off offset:1352
	global_load_dword v14, v[7:8], off offset:2028
	v_add_co_u32 v7, s0, 0x800, v7
	v_add_co_ci_u32_e64 v8, s0, 0, v8, s0
	global_load_dword v7, v[7:8], off offset:656
	ds_write_b16 v9, v10 offset:6762
	ds_write_b32 v0, v12
	ds_write_b16 v9, v11 offset:6760
	ds_read_b32 v8, v0 offset:676
	ds_read_b32 v10, v9 offset:6084
	s_waitcnt lgkmcnt(0)
	v_pk_add_f16 v11, v8, v10 neg_lo:[0,1] neg_hi:[0,1]
	v_pk_add_f16 v8, v8, v10
	v_bfi_b32 v10, 0xffff, v11, v8
	v_bfi_b32 v8, 0xffff, v8, v11
	v_pk_mul_f16 v10, v10, 0.5 op_sel_hi:[1,0]
	v_pk_mul_f16 v12, v8, 0.5 op_sel_hi:[1,0]
	s_waitcnt vmcnt(3)
	v_pk_mul_f16 v11, v4, v10 op_sel:[1,0]
	v_pk_mul_f16 v4, v4, v10 op_sel_hi:[0,1]
	v_pk_fma_f16 v8, v8, 0.5, v11 op_sel_hi:[1,0,1]
	v_sub_f16_sdwa v10, v11, v12 dst_sel:DWORD dst_unused:UNUSED_PAD src0_sel:WORD_1 src1_sel:WORD_1
	v_sub_f16_e32 v11, v12, v11
	v_pk_add_f16 v15, v8, v4 op_sel:[0,1] op_sel_hi:[1,0]
	v_pk_add_f16 v8, v8, v4 op_sel:[0,1] op_sel_hi:[1,0] neg_lo:[0,1] neg_hi:[0,1]
	v_sub_f16_e32 v10, v10, v4
	v_sub_f16_sdwa v4, v11, v4 dst_sel:DWORD dst_unused:UNUSED_PAD src0_sel:DWORD src1_sel:WORD_1
	v_bfi_b32 v8, 0xffff, v15, v8
	ds_write_b16 v9, v10 offset:6086
	ds_write_b32 v0, v8 offset:676
	ds_write_b16 v9, v4 offset:6084
	ds_read_b32 v4, v0 offset:1352
	ds_read_b32 v8, v9 offset:5408
	s_waitcnt lgkmcnt(0)
	v_pk_add_f16 v10, v4, v8 neg_lo:[0,1] neg_hi:[0,1]
	v_pk_add_f16 v4, v4, v8
	v_bfi_b32 v8, 0xffff, v10, v4
	v_bfi_b32 v4, 0xffff, v4, v10
	v_pk_mul_f16 v8, v8, 0.5 op_sel_hi:[1,0]
	v_pk_mul_f16 v11, v4, 0.5 op_sel_hi:[1,0]
	s_waitcnt vmcnt(2)
	v_pk_mul_f16 v10, v13, v8 op_sel:[1,0]
	v_pk_mul_f16 v8, v13, v8 op_sel_hi:[0,1]
	v_pk_fma_f16 v4, v4, 0.5, v10 op_sel_hi:[1,0,1]
	v_sub_f16_sdwa v12, v10, v11 dst_sel:DWORD dst_unused:UNUSED_PAD src0_sel:WORD_1 src1_sel:WORD_1
	v_sub_f16_e32 v10, v11, v10
	v_pk_add_f16 v13, v4, v8 op_sel:[0,1] op_sel_hi:[1,0]
	v_pk_add_f16 v4, v4, v8 op_sel:[0,1] op_sel_hi:[1,0] neg_lo:[0,1] neg_hi:[0,1]
	v_sub_f16_e32 v11, v12, v8
	v_sub_f16_sdwa v8, v10, v8 dst_sel:DWORD dst_unused:UNUSED_PAD src0_sel:DWORD src1_sel:WORD_1
	v_bfi_b32 v4, 0xffff, v13, v4
	ds_write_b16 v9, v11 offset:5410
	ds_write_b32 v0, v4 offset:1352
	ds_write_b16 v9, v8 offset:5408
	ds_read_b32 v4, v0 offset:2028
	ds_read_b32 v8, v9 offset:4732
	s_waitcnt lgkmcnt(0)
	v_pk_add_f16 v10, v4, v8 neg_lo:[0,1] neg_hi:[0,1]
	v_pk_add_f16 v4, v4, v8
	v_bfi_b32 v8, 0xffff, v10, v4
	v_bfi_b32 v4, 0xffff, v4, v10
	v_pk_mul_f16 v8, v8, 0.5 op_sel_hi:[1,0]
	v_pk_mul_f16 v4, v4, 0.5 op_sel_hi:[1,0]
	s_waitcnt vmcnt(1)
	v_pk_mul_f16 v11, v14, v8 op_sel_hi:[0,1]
	v_pk_fma_f16 v10, v14, v8, v4 op_sel:[1,0,0]
	v_pk_fma_f16 v12, v14, v8, v4 op_sel:[1,0,0] neg_lo:[1,0,0] neg_hi:[1,0,0]
	v_pk_fma_f16 v4, v14, v8, v4 op_sel:[1,0,0] neg_lo:[0,0,1] neg_hi:[0,0,1]
	v_pk_add_f16 v8, v10, v11 op_sel:[0,1] op_sel_hi:[1,0]
	v_pk_add_f16 v10, v10, v11 op_sel:[0,1] op_sel_hi:[1,0] neg_lo:[0,1] neg_hi:[0,1]
	v_pk_add_f16 v12, v12, v11 op_sel:[0,1] op_sel_hi:[1,0] neg_lo:[0,1] neg_hi:[0,1]
	;; [unrolled: 1-line block ×3, first 2 shown]
	v_bfi_b32 v8, 0xffff, v8, v10
	v_bfi_b32 v4, 0xffff, v12, v4
	ds_write_b32 v0, v8 offset:2028
	ds_write_b32 v9, v4 offset:4732
	ds_read_b32 v4, v0 offset:2704
	ds_read_b32 v8, v9 offset:4056
	s_waitcnt lgkmcnt(0)
	v_pk_add_f16 v10, v4, v8 neg_lo:[0,1] neg_hi:[0,1]
	v_pk_add_f16 v4, v4, v8
	v_bfi_b32 v8, 0xffff, v10, v4
	v_bfi_b32 v4, 0xffff, v4, v10
	v_pk_mul_f16 v8, v8, 0.5 op_sel_hi:[1,0]
	v_pk_mul_f16 v4, v4, 0.5 op_sel_hi:[1,0]
	s_waitcnt vmcnt(0)
	v_pk_mul_f16 v11, v7, v8 op_sel_hi:[0,1]
	v_pk_fma_f16 v10, v7, v8, v4 op_sel:[1,0,0]
	v_pk_fma_f16 v12, v7, v8, v4 op_sel:[1,0,0] neg_lo:[1,0,0] neg_hi:[1,0,0]
	v_pk_fma_f16 v4, v7, v8, v4 op_sel:[1,0,0] neg_lo:[0,0,1] neg_hi:[0,0,1]
	v_pk_add_f16 v7, v10, v11 op_sel:[0,1] op_sel_hi:[1,0]
	v_pk_add_f16 v8, v10, v11 op_sel:[0,1] op_sel_hi:[1,0] neg_lo:[0,1] neg_hi:[0,1]
	v_pk_add_f16 v10, v12, v11 op_sel:[0,1] op_sel_hi:[1,0] neg_lo:[0,1] neg_hi:[0,1]
	v_pk_add_f16 v4, v4, v11 op_sel:[0,1] op_sel_hi:[1,0] neg_lo:[0,1] neg_hi:[0,1]
	v_bfi_b32 v7, 0xffff, v7, v8
	v_bfi_b32 v4, 0xffff, v10, v4
	ds_write_b32 v0, v7 offset:2704
	ds_write_b32 v9, v4 offset:4056
	s_waitcnt lgkmcnt(0)
	s_barrier
	buffer_gl0_inv
	s_and_saveexec_b32 s0, vcc_lo
	s_cbranch_execz .LBB0_26
; %bb.24:
	v_mul_lo_u32 v0, s3, v5
	v_mul_lo_u32 v7, s2, v6
	v_mad_u64_u32 v[5:6], null, s2, v5, 0
	v_lshl_add_u32 v17, v3, 2, 0
	v_mov_b32_e32 v4, 0
	v_add_nc_u32_e32 v9, 0x152, v3
	v_add_nc_u32_e32 v15, 0x2a4, v3
	ds_read2_b32 v[11:12], v17 offset1:169
	v_add3_u32 v6, v6, v7, v0
	v_lshlrev_b64 v[0:1], 2, v[1:2]
	v_add_nc_u32_e32 v7, 0xa9, v3
	v_mov_b32_e32 v8, v4
	v_lshlrev_b64 v[13:14], 2, v[3:4]
	v_lshlrev_b64 v[5:6], 2, v[5:6]
	v_mov_b32_e32 v10, v4
	v_mov_b32_e32 v16, v4
	v_lshlrev_b64 v[7:8], 2, v[7:8]
	v_add_co_u32 v2, vcc_lo, s10, v5
	v_add_co_ci_u32_e32 v5, vcc_lo, s11, v6, vcc_lo
	v_add_nc_u32_e32 v6, 0x400, v17
	v_add_co_u32 v0, vcc_lo, v2, v0
	v_add_co_ci_u32_e32 v1, vcc_lo, v5, v1, vcc_lo
	ds_read2_b32 v[5:6], v6 offset0:82 offset1:251
	v_add_co_u32 v13, vcc_lo, v0, v13
	v_lshlrev_b64 v[9:10], 2, v[9:10]
	v_add_co_ci_u32_e32 v14, vcc_lo, v1, v14, vcc_lo
	v_add_co_u32 v7, vcc_lo, v0, v7
	v_add_co_ci_u32_e32 v8, vcc_lo, v1, v8, vcc_lo
	v_add_co_u32 v9, vcc_lo, v0, v9
	v_add_co_ci_u32_e32 v10, vcc_lo, v1, v10, vcc_lo
	v_add_nc_u32_e32 v2, 0xa00, v17
	s_waitcnt lgkmcnt(1)
	global_store_dword v[13:14], v11, off
	v_add_nc_u32_e32 v13, 0x1fb, v3
	v_mov_b32_e32 v14, v4
	global_store_dword v[7:8], v12, off
	s_waitcnt lgkmcnt(0)
	global_store_dword v[9:10], v5, off
	ds_read2_b32 v[9:10], v2 offset0:36 offset1:205
	v_lshlrev_b64 v[11:12], 2, v[15:16]
	v_lshlrev_b64 v[7:8], 2, v[13:14]
	v_add_nc_u32_e32 v13, 0x34d, v3
	v_add_nc_u32_e32 v15, 0x3f6, v3
	;; [unrolled: 1-line block ×3, first 2 shown]
	v_add_co_u32 v7, vcc_lo, v0, v7
	v_lshlrev_b64 v[13:14], 2, v[13:14]
	v_add_co_ci_u32_e32 v8, vcc_lo, v1, v8, vcc_lo
	v_add_co_u32 v11, vcc_lo, v0, v11
	v_add_co_ci_u32_e32 v12, vcc_lo, v1, v12, vcc_lo
	v_add_co_u32 v13, vcc_lo, v0, v13
	v_add_co_ci_u32_e32 v14, vcc_lo, v1, v14, vcc_lo
	global_store_dword v[7:8], v6, off
	s_waitcnt lgkmcnt(0)
	global_store_dword v[11:12], v9, off
	global_store_dword v[13:14], v10, off
	v_add_nc_u32_e32 v9, 0x49f, v3
	v_mov_b32_e32 v10, v4
	ds_read2_b32 v[5:6], v2 offset0:54 offset1:223
	v_lshlrev_b64 v[7:8], 2, v[15:16]
	v_add_nc_u32_e32 v2, 0x1400, v17
	v_add_nc_u32_e32 v11, 0x548, v3
	v_mov_b32_e32 v12, v4
	v_lshlrev_b64 v[9:10], 2, v[9:10]
	v_add_nc_u32_e32 v15, 0x5f1, v3
	ds_read2_b32 v[13:14], v2 offset0:72 offset1:241
	v_add_co_u32 v7, vcc_lo, v0, v7
	v_lshlrev_b64 v[11:12], 2, v[11:12]
	v_add_co_ci_u32_e32 v8, vcc_lo, v1, v8, vcc_lo
	v_add_co_u32 v9, vcc_lo, v0, v9
	v_lshlrev_b64 v[15:16], 2, v[15:16]
	v_add_co_ci_u32_e32 v10, vcc_lo, v1, v10, vcc_lo
	v_add_co_u32 v11, vcc_lo, v0, v11
	v_add_co_ci_u32_e32 v12, vcc_lo, v1, v12, vcc_lo
	v_add_co_u32 v15, vcc_lo, v0, v15
	v_add_co_ci_u32_e32 v16, vcc_lo, v1, v16, vcc_lo
	v_cmp_eq_u32_e32 vcc_lo, 0xa8, v3
	s_waitcnt lgkmcnt(1)
	global_store_dword v[7:8], v5, off
	global_store_dword v[9:10], v6, off
	s_waitcnt lgkmcnt(0)
	global_store_dword v[11:12], v13, off
	global_store_dword v[15:16], v14, off
	s_and_b32 exec_lo, exec_lo, vcc_lo
	s_cbranch_execz .LBB0_26
; %bb.25:
	ds_read_b32 v2, v4 offset:6760
	v_add_co_u32 v0, vcc_lo, 0x1800, v0
	v_add_co_ci_u32_e32 v1, vcc_lo, 0, v1, vcc_lo
	s_waitcnt lgkmcnt(0)
	global_store_dword v[0:1], v2, off offset:616
.LBB0_26:
	s_endpgm
	.section	.rodata,"a",@progbits
	.p2align	6, 0x0
	.amdhsa_kernel fft_rtc_fwd_len1690_factors_13_10_13_wgs_169_tpt_169_half_op_CI_CI_unitstride_sbrr_R2C_dirReg
		.amdhsa_group_segment_fixed_size 0
		.amdhsa_private_segment_fixed_size 0
		.amdhsa_kernarg_size 104
		.amdhsa_user_sgpr_count 6
		.amdhsa_user_sgpr_private_segment_buffer 1
		.amdhsa_user_sgpr_dispatch_ptr 0
		.amdhsa_user_sgpr_queue_ptr 0
		.amdhsa_user_sgpr_kernarg_segment_ptr 1
		.amdhsa_user_sgpr_dispatch_id 0
		.amdhsa_user_sgpr_flat_scratch_init 0
		.amdhsa_user_sgpr_private_segment_size 0
		.amdhsa_wavefront_size32 1
		.amdhsa_uses_dynamic_stack 0
		.amdhsa_system_sgpr_private_segment_wavefront_offset 0
		.amdhsa_system_sgpr_workgroup_id_x 1
		.amdhsa_system_sgpr_workgroup_id_y 0
		.amdhsa_system_sgpr_workgroup_id_z 0
		.amdhsa_system_sgpr_workgroup_info 0
		.amdhsa_system_vgpr_workitem_id 0
		.amdhsa_next_free_vgpr 111
		.amdhsa_next_free_sgpr 27
		.amdhsa_reserve_vcc 1
		.amdhsa_reserve_flat_scratch 0
		.amdhsa_float_round_mode_32 0
		.amdhsa_float_round_mode_16_64 0
		.amdhsa_float_denorm_mode_32 3
		.amdhsa_float_denorm_mode_16_64 3
		.amdhsa_dx10_clamp 1
		.amdhsa_ieee_mode 1
		.amdhsa_fp16_overflow 0
		.amdhsa_workgroup_processor_mode 1
		.amdhsa_memory_ordered 1
		.amdhsa_forward_progress 0
		.amdhsa_shared_vgpr_count 0
		.amdhsa_exception_fp_ieee_invalid_op 0
		.amdhsa_exception_fp_denorm_src 0
		.amdhsa_exception_fp_ieee_div_zero 0
		.amdhsa_exception_fp_ieee_overflow 0
		.amdhsa_exception_fp_ieee_underflow 0
		.amdhsa_exception_fp_ieee_inexact 0
		.amdhsa_exception_int_div_zero 0
	.end_amdhsa_kernel
	.text
.Lfunc_end0:
	.size	fft_rtc_fwd_len1690_factors_13_10_13_wgs_169_tpt_169_half_op_CI_CI_unitstride_sbrr_R2C_dirReg, .Lfunc_end0-fft_rtc_fwd_len1690_factors_13_10_13_wgs_169_tpt_169_half_op_CI_CI_unitstride_sbrr_R2C_dirReg
                                        ; -- End function
	.section	.AMDGPU.csdata,"",@progbits
; Kernel info:
; codeLenInByte = 11696
; NumSgprs: 29
; NumVgprs: 111
; ScratchSize: 0
; MemoryBound: 0
; FloatMode: 240
; IeeeMode: 1
; LDSByteSize: 0 bytes/workgroup (compile time only)
; SGPRBlocks: 3
; VGPRBlocks: 13
; NumSGPRsForWavesPerEU: 29
; NumVGPRsForWavesPerEU: 111
; Occupancy: 9
; WaveLimiterHint : 1
; COMPUTE_PGM_RSRC2:SCRATCH_EN: 0
; COMPUTE_PGM_RSRC2:USER_SGPR: 6
; COMPUTE_PGM_RSRC2:TRAP_HANDLER: 0
; COMPUTE_PGM_RSRC2:TGID_X_EN: 1
; COMPUTE_PGM_RSRC2:TGID_Y_EN: 0
; COMPUTE_PGM_RSRC2:TGID_Z_EN: 0
; COMPUTE_PGM_RSRC2:TIDIG_COMP_CNT: 0
	.text
	.p2alignl 6, 3214868480
	.fill 48, 4, 3214868480
	.type	__hip_cuid_9ef08be9053e14aa,@object ; @__hip_cuid_9ef08be9053e14aa
	.section	.bss,"aw",@nobits
	.globl	__hip_cuid_9ef08be9053e14aa
__hip_cuid_9ef08be9053e14aa:
	.byte	0                               ; 0x0
	.size	__hip_cuid_9ef08be9053e14aa, 1

	.ident	"AMD clang version 19.0.0git (https://github.com/RadeonOpenCompute/llvm-project roc-6.4.0 25133 c7fe45cf4b819c5991fe208aaa96edf142730f1d)"
	.section	".note.GNU-stack","",@progbits
	.addrsig
	.addrsig_sym __hip_cuid_9ef08be9053e14aa
	.amdgpu_metadata
---
amdhsa.kernels:
  - .args:
      - .actual_access:  read_only
        .address_space:  global
        .offset:         0
        .size:           8
        .value_kind:     global_buffer
      - .offset:         8
        .size:           8
        .value_kind:     by_value
      - .actual_access:  read_only
        .address_space:  global
        .offset:         16
        .size:           8
        .value_kind:     global_buffer
      - .actual_access:  read_only
        .address_space:  global
        .offset:         24
        .size:           8
        .value_kind:     global_buffer
      - .actual_access:  read_only
        .address_space:  global
        .offset:         32
        .size:           8
        .value_kind:     global_buffer
      - .offset:         40
        .size:           8
        .value_kind:     by_value
      - .actual_access:  read_only
        .address_space:  global
        .offset:         48
        .size:           8
        .value_kind:     global_buffer
      - .actual_access:  read_only
        .address_space:  global
        .offset:         56
        .size:           8
        .value_kind:     global_buffer
      - .offset:         64
        .size:           4
        .value_kind:     by_value
      - .actual_access:  read_only
        .address_space:  global
        .offset:         72
        .size:           8
        .value_kind:     global_buffer
      - .actual_access:  read_only
        .address_space:  global
        .offset:         80
        .size:           8
        .value_kind:     global_buffer
      - .actual_access:  read_only
        .address_space:  global
        .offset:         88
        .size:           8
        .value_kind:     global_buffer
      - .actual_access:  write_only
        .address_space:  global
        .offset:         96
        .size:           8
        .value_kind:     global_buffer
    .group_segment_fixed_size: 0
    .kernarg_segment_align: 8
    .kernarg_segment_size: 104
    .language:       OpenCL C
    .language_version:
      - 2
      - 0
    .max_flat_workgroup_size: 169
    .name:           fft_rtc_fwd_len1690_factors_13_10_13_wgs_169_tpt_169_half_op_CI_CI_unitstride_sbrr_R2C_dirReg
    .private_segment_fixed_size: 0
    .sgpr_count:     29
    .sgpr_spill_count: 0
    .symbol:         fft_rtc_fwd_len1690_factors_13_10_13_wgs_169_tpt_169_half_op_CI_CI_unitstride_sbrr_R2C_dirReg.kd
    .uniform_work_group_size: 1
    .uses_dynamic_stack: false
    .vgpr_count:     111
    .vgpr_spill_count: 0
    .wavefront_size: 32
    .workgroup_processor_mode: 1
amdhsa.target:   amdgcn-amd-amdhsa--gfx1030
amdhsa.version:
  - 1
  - 2
...

	.end_amdgpu_metadata
